;; amdgpu-corpus repo=ROCm/aiter kind=harvested arch=n/a opt=n/a

/root/src/amdgpu-assembly/repos/ROCm__aiter/hsa/gfx942/gemm_a8w8_m128_noSplitK.co:	file format elf64-amdgpu

Disassembly of section .text:

0000000000002000 <gemm_kernel_func>:
	s_and_b32 s1, s1, 0xffff                                   // 000000002000: 8601FF01 0000FFFF
	s_load_dwordx2 s[16:17], s[0:1], 0x0                       // 000000002008: C0060400 00000000
	s_load_dwordx2 s[4:5], s[0:1], 0x10                        // 000000002010: C0060100 00000010
	s_load_dwordx2 s[8:9], s[0:1], 0x20                        // 000000002018: C0060200 00000020
	s_load_dwordx2 s[72:73], s[0:1], 0x30                      // 000000002020: C0061200 00000030
	s_load_dwordx2 s[76:77], s[0:1], 0x40                      // 000000002028: C0061300 00000040
	s_load_dwordx2 s[80:81], s[0:1], 0x50                      // 000000002030: C0061400 00000050
	s_load_dword s40, s[0:1], 0x60                             // 000000002038: C0020A00 00000060
	s_load_dword s41, s[0:1], 0x70                             // 000000002040: C0020A40 00000070
	s_load_dword s42, s[0:1], 0x80                             // 000000002048: C0020A80 00000080
	s_load_dword s43, s[0:1], 0x90                             // 000000002050: C0020AC0 00000090
	s_load_dword s44, s[0:1], 0xa0                             // 000000002058: C0020B00 000000A0
	s_load_dword s45, s[0:1], 0xb0                             // 000000002060: C0020B40 000000B0
	v_lshrrev_b32_e32 v1, 10, v0                               // 000000002068: 2002008A
	v_lshrrev_b32_e32 v2, 10, v1                               // 00000000206C: 2004028A
	v_and_b32_e32 v2, 0x3ff, v2                                // 000000002070: 260404FF 000003FF
	v_and_b32_e32 v1, 0x3ff, v1                                // 000000002078: 260202FF 000003FF
	v_and_b32_e32 v0, 0x3ff, v0                                // 000000002080: 260000FF 000003FF
	v_lshrrev_b32_e32 v3, 6, v0                                // 000000002088: 20060086
	v_and_b32_e32 v0, 63, v0                                   // 00000000208C: 260000BF
	s_mov_b32 s46, s2                                          // 000000002090: BEAE0002
	s_mov_b32 s47, s3                                          // 000000002094: BEAF0003
	v_readfirstlane_b32 s48, v3                                // 000000002098: 7E600503
	s_waitcnt lgkmcnt(0)                                       // 00000000209C: BF8CC07F
	s_mov_b32 s88, s16                                         // 0000000020A0: BED80010
	s_and_b32 s89, s17, 0xffff                                 // 0000000020A4: 8659FF11 0000FFFF
	s_or_b32 s89, s89, 0x40000                                 // 0000000020AC: 8759FF59 00040000
	s_mul_i32 s20, s43, s40                                    // 0000000020B4: 9214282B
	s_mov_b32 s6, s20                                          // 0000000020B8: BE860014
	s_mov_b32 s10, 0x80000000                                  // 0000000020BC: BE8A00FF 80000000
	s_mul_i32 s20, s45, s40                                    // 0000000020C4: 9214282D
	s_mov_b32 s18, s20                                         // 0000000020C8: BE920014
	s_mov_b32 s62, 0x80000000                                  // 0000000020CC: BEBE00FF 80000000
	s_mov_b32 s74, 0x80000000                                  // 0000000020D4: BECA00FF 80000000
	s_mov_b32 s78, 0x80000000                                  // 0000000020DC: BECE00FF 80000000
	s_mov_b32 s82, 0x80000000                                  // 0000000020E4: BED200FF 80000000
	s_mov_b32 s7, 0x20000                                      // 0000000020EC: BE8700FF 00020000
	s_mov_b32 s11, 0x20000                                     // 0000000020F4: BE8B00FF 00020000
	s_mov_b32 s19, 0x20000                                     // 0000000020FC: BE9300FF 00020000
	s_mov_b32 s63, 0x20000                                     // 000000002104: BEBF00FF 00020000
	s_mov_b32 s75, 0x20000                                     // 00000000210C: BECB00FF 00020000
	s_mov_b32 s79, 0x20000                                     // 000000002114: BECF00FF 00020000
	s_mov_b32 s83, 0x20000                                     // 00000000211C: BED300FF 00020000
	s_and_b32 s5, s5, 0xffff                                   // 000000002124: 8605FF05 0000FFFF
	s_and_b32 s9, s9, 0xffff                                   // 00000000212C: 8609FF09 0000FFFF
	s_and_b32 s17, s17, 0xffff                                 // 000000002134: 8611FF11 0000FFFF
	s_and_b32 s61, s61, 0xffff                                 // 00000000213C: 863DFF3D 0000FFFF
	s_and_b32 s73, s73, 0xffff                                 // 000000002144: 8649FF49 0000FFFF
	s_and_b32 s77, s77, 0xffff                                 // 00000000214C: 864DFF4D 0000FFFF
	s_and_b32 s81, s81, 0xffff                                 // 000000002154: 8651FF51 0000FFFF
	s_or_b32 s5, s5, 0x40000                                   // 00000000215C: 8705FF05 00040000
	s_or_b32 s9, s9, 0x40000                                   // 000000002164: 8709FF09 00040000
	s_or_b32 s17, s17, 0x40000                                 // 00000000216C: 8711FF11 00040000
	s_or_b32 s61, s61, 0x40000                                 // 000000002174: 873DFF3D 00040000
	s_or_b32 s73, s73, 0x40000                                 // 00000000217C: 8749FF49 00040000
	s_or_b32 s77, s77, 0x40000                                 // 000000002184: 874DFF4D 00040000
	s_or_b32 s81, s81, 0x40000                                 // 00000000218C: 8751FF51 00040000
	s_mul_i32 s69, 0x80, s47                                   // 000000002194: 92452FFF 00000080
	s_mul_i32 s70, 0x80, s46                                   // 00000000219C: 92462EFF 00000080
	s_mul_i32 s20, s48, 32                                     // 0000000021A4: 9214A030
	s_add_i32 s70, s70, s20                                    // 0000000021A8: 81461446
	v_and_b32_e64 v110, v0, 31                                 // 0000000021AC: D113006E 00013F00
	v_add_u32_e32 v110, s69, v110                              // 0000000021B4: 68DCDC45
	v_lshlrev_b32_e32 v110, 2, v110                            // 0000000021B8: 24DCDC82
	buffer_load_dword v104, v110, s[72:75], 0 offen            // 0000000021BC: E0501000 8012686E
	buffer_load_dword v105, v110, s[72:75], 0 offen offset:128 // 0000000021C4: E0501080 8012696E
	buffer_load_dword v106, v110, s[72:75], 0 offen offset:256 // 0000000021CC: E0501100 80126A6E
	buffer_load_dword v107, v110, s[72:75], 0 offen offset:384 // 0000000021D4: E0501180 80126B6E
	v_and_b32_e64 v100, v0, 3                                  // 0000000021DC: D1130064 00010700
	v_lshrrev_b32_e32 v101, 5, v0                              // 0000000021E4: 20CA0085
	v_lshlrev_b32_e32 v101, 2, v101                            // 0000000021E8: 24CACA82
	v_and_b32_e64 v102, v0, 15                                 // 0000000021EC: D1130066 00011F00
	v_lshrrev_b32_e32 v102, 2, v102                            // 0000000021F4: 20CCCC82
	v_lshlrev_b32_e32 v102, 3, v102                            // 0000000021F8: 24CCCC83
	v_add_u32_e32 v111, s70, v100                              // 0000000021FC: 68DEC846
	v_add_u32_e32 v111, v111, v101                             // 000000002200: 68DECB6F
	v_add_u32_e32 v111, v111, v102                             // 000000002204: 68DECD6F
	v_lshlrev_b32_e32 v111, 2, v111                            // 000000002208: 24DEDE82
	buffer_load_dword v108, v111, s[76:79], 0 offen            // 00000000220C: E0501000 80136C6F
	buffer_load_dword v109, v111, s[80:83], 0 offen            // 000000002214: E0501000 80146D6F
	s_mov_b32 s71, 0x7060302                                   // 00000000221C: BEC700FF 07060302
	v_mov_b32_e32 v113, 0xffff0000                             // 000000002224: 7EE202FF FFFF0000
	v_mov_b32_e32 v114, 0x7fff0000                             // 00000000222C: 7EE402FF 7FFF0000
	v_mov_b32_e32 v115, 0x7fff                                 // 000000002234: 7EE602FF 00007FFF
	v_lshrrev_b32_e32 v100, 5, v0                              // 00000000223C: 20C80085
	v_mul_i32_i24_e32 v100, s43, v100                          // 000000002240: 0CC8C82B
	v_lshlrev_b32_e32 v100, 5, v100                            // 000000002244: 24C8C885
	v_and_b32_e32 v120, 31, v0                                 // 000000002248: 26F0009F
	v_lshlrev_b32_e32 v120, 2, v120                            // 00000000224C: 24F0F082
	s_mul_i32 s21, 0x80, s47                                   // 000000002250: 92152FFF 00000080
	s_mul_i32 s21, s43, s21                                    // 000000002258: 9215152B
	s_mul_i32 s20, 8, s48                                      // 00000000225C: 92143088
	s_mul_i32 s20, s43, s20                                    // 000000002260: 9214142B
	v_add_u32_e32 v120, v100, v120                             // 000000002264: 68F0F164
	v_add_u32_e32 v120, s21, v120                              // 000000002268: 68F0F015
	v_add_u32_e32 v120, s20, v120                              // 00000000226C: 68F0F014
	s_mul_i32 s20, 1, s43                                      // 000000002270: 92142B81
	s_sub_u32 s20, s20, 0x104                                  // 000000002274: 8094FF14 00000104
	v_add_u32_e32 v121, s20, v120                              // 00000000227C: 68F2F014
	v_add_u32_e32 v122, s20, v121                              // 000000002280: 68F4F214
	v_add_u32_e32 v123, s20, v122                              // 000000002284: 68F6F414
	v_add_u32_e32 v124, s20, v123                              // 000000002288: 68F8F614
	v_add_u32_e32 v125, s20, v124                              // 00000000228C: 68FAF814
	v_add_u32_e32 v126, s20, v125                              // 000000002290: 68FCFA14
	v_add_u32_e32 v127, s20, v126                              // 000000002294: 68FEFC14
	s_mul_i32 s20, 64, s43                                     // 000000002298: 92142BC0
	v_add_u32_e32 v128, s20, v120                              // 00000000229C: 6900F014
	v_add_u32_e32 v129, s20, v121                              // 0000000022A0: 6902F214
	v_add_u32_e32 v130, s20, v122                              // 0000000022A4: 6904F414
	v_add_u32_e32 v131, s20, v123                              // 0000000022A8: 6906F614
	v_add_u32_e32 v132, s20, v124                              // 0000000022AC: 6908F814
	v_add_u32_e32 v133, s20, v125                              // 0000000022B0: 690AFA14
	v_add_u32_e32 v134, s20, v126                              // 0000000022B4: 690CFC14
	v_add_u32_e32 v135, s20, v127                              // 0000000022B8: 690EFE14
	s_mov_b32 s25, 0x80                                        // 0000000022BC: BE9900FF 00000080
	s_mov_b32 s27, 0x4100                                      // 0000000022C4: BE9B00FF 00004100
	s_mov_b32 s20, 0x104                                       // 0000000022CC: BE9400FF 00000104
	v_and_b32_e32 v100, 31, v0                                 // 0000000022D4: 26C8009F
	v_mul_i32_i24_e32 v100, s20, v100                          // 0000000022D8: 0CC8C814
	v_lshrrev_b32_e32 v101, 5, v0                              // 0000000022DC: 20CA0085
	v_lshlrev_b32_e32 v101, 4, v101                            // 0000000022E0: 24CACA84
	v_add_u32_e32 v4, v100, v101                               // 0000000022E4: 6808CB64
	s_lshl_b32 s21, s20, 6                                     // 0000000022E8: 8E158614
	v_add_u32_e32 v5, s21, v4                                  // 0000000022EC: 680A0815
	s_mul_i32 s20, 0x820, s48                                  // 0000000022F0: 921430FF 00000820
	s_mov_b32 s21, 0x4100                                      // 0000000022F8: BE9500FF 00004100
	s_mov_b32 s36, s20                                         // 000000002300: BEA40014
	s_add_i32 s37, s36, s21                                    // 000000002304: 81251524
	s_mov_b32 m0, s36                                          // 000000002308: BEFC0024
	buffer_load_dword v120, s[4:7], 0 offen lds                // 00000000230C: E0511000 80010078
	buffer_load_dword v121, s[4:7], 0 offen offset:260 lds     // 000000002314: E0511104 80010079
	buffer_load_dword v122, s[4:7], 0 offen offset:520 lds     // 00000000231C: E0511208 8001007A
	buffer_load_dword v123, s[4:7], 0 offen offset:780 lds     // 000000002324: E051130C 8001007B
	buffer_load_dword v124, s[4:7], 0 offen offset:1040 lds    // 00000000232C: E0511410 8001007C
	buffer_load_dword v125, s[4:7], 0 offen offset:1300 lds    // 000000002334: E0511514 8001007D
	buffer_load_dword v126, s[4:7], 0 offen offset:1560 lds    // 00000000233C: E0511618 8001007E
	buffer_load_dword v127, s[4:7], 0 offen offset:1820 lds    // 000000002344: E051171C 8001007F
	s_mul_i32 s23, 0x80, s46                                   // 00000000234C: 92172EFF 00000080
	s_mul_i32 s20, s48, 32                                     // 000000002354: 9214A030
	s_add_i32 s23, s23, s20                                    // 000000002358: 81171417
	s_mul_i32 s23, s44, s23                                    // 00000000235C: 9217172C
	s_lshr_b32 s23, s23, 2                                     // 000000002360: 8F178217
	v_lshlrev_b32_e32 v8, 2, v0                                // 000000002364: 24100082
	v_add_u32_e32 v8, s23, v8                                  // 000000002368: 68101017
	v_lshlrev_b32_e32 v8, 2, v8                                // 00000000236C: 24101082
	s_mov_b32 s26, 0x1000                                      // 000000002370: BE9A00FF 00001000
	buffer_load_dwordx4 a[0:3], v8, s[8:11], 0 offen           // 000000002378: E05C1000 80820008
	buffer_load_dwordx4 a[4:7], v8, s[8:11], 0 offen offset:1024// 000000002380: E05C1400 80820408
	buffer_load_dwordx4 a[8:11], v8, s[8:11], 0 offen offset:2048// 000000002388: E05C1800 80820808
	buffer_load_dwordx4 a[12:15], v8, s[8:11], 0 offen offset:3072// 000000002390: E05C1C00 80820C08
	s_add_u32 s8, s26, s8                                      // 000000002398: 8008081A
	s_addc_u32 s9, 0, s9                                       // 00000000239C: 82090980
	v_mov_b32_e32 v192, 0                                      // 0000000023A0: 7F800280
	v_mov_b32_e32 v193, 0                                      // 0000000023A4: 7F820280
	v_mov_b32_e32 v194, 0                                      // 0000000023A8: 7F840280
	v_mov_b32_e32 v195, 0                                      // 0000000023AC: 7F860280
	v_mov_b32_e32 v196, 0                                      // 0000000023B0: 7F880280
	v_mov_b32_e32 v197, 0                                      // 0000000023B4: 7F8A0280
	v_mov_b32_e32 v198, 0                                      // 0000000023B8: 7F8C0280
	v_mov_b32_e32 v199, 0                                      // 0000000023BC: 7F8E0280
	v_mov_b32_e32 v200, 0                                      // 0000000023C0: 7F900280
	v_mov_b32_e32 v201, 0                                      // 0000000023C4: 7F920280
	v_mov_b32_e32 v202, 0                                      // 0000000023C8: 7F940280
	v_mov_b32_e32 v203, 0                                      // 0000000023CC: 7F960280
	v_mov_b32_e32 v204, 0                                      // 0000000023D0: 7F980280
	v_mov_b32_e32 v205, 0                                      // 0000000023D4: 7F9A0280
	v_mov_b32_e32 v206, 0                                      // 0000000023D8: 7F9C0280
	v_mov_b32_e32 v207, 0                                      // 0000000023DC: 7F9E0280
	v_mov_b32_e32 v208, 0                                      // 0000000023E0: 7FA00280
	v_mov_b32_e32 v209, 0                                      // 0000000023E4: 7FA20280
	v_mov_b32_e32 v210, 0                                      // 0000000023E8: 7FA40280
	v_mov_b32_e32 v211, 0                                      // 0000000023EC: 7FA60280
	v_mov_b32_e32 v212, 0                                      // 0000000023F0: 7FA80280
	v_mov_b32_e32 v213, 0                                      // 0000000023F4: 7FAA0280
	v_mov_b32_e32 v214, 0                                      // 0000000023F8: 7FAC0280
	v_mov_b32_e32 v215, 0                                      // 0000000023FC: 7FAE0280
	v_mov_b32_e32 v216, 0                                      // 000000002400: 7FB00280
	v_mov_b32_e32 v217, 0                                      // 000000002404: 7FB20280
	v_mov_b32_e32 v218, 0                                      // 000000002408: 7FB40280
	v_mov_b32_e32 v219, 0                                      // 00000000240C: 7FB60280
	v_mov_b32_e32 v220, 0                                      // 000000002410: 7FB80280
	v_mov_b32_e32 v221, 0                                      // 000000002414: 7FBA0280
	v_mov_b32_e32 v222, 0                                      // 000000002418: 7FBC0280
	v_mov_b32_e32 v223, 0                                      // 00000000241C: 7FBE0280
	s_add_i32 m0, m0, 0x2080                                   // 000000002420: 817CFF7C 00002080
	buffer_load_dword v128, s[4:7], 0 offen lds                // 000000002428: E0511000 80010080
	buffer_load_dword v129, s[4:7], 0 offen offset:260 lds     // 000000002430: E0511104 80010081
	buffer_load_dword v130, s[4:7], 0 offen offset:520 lds     // 000000002438: E0511208 80010082
	buffer_load_dword v131, s[4:7], 0 offen offset:780 lds     // 000000002440: E051130C 80010083
	buffer_load_dword v132, s[4:7], 0 offen offset:1040 lds    // 000000002448: E0511410 80010084
	buffer_load_dword v133, s[4:7], 0 offen offset:1300 lds    // 000000002450: E0511514 80010085
	buffer_load_dword v134, s[4:7], 0 offen offset:1560 lds    // 000000002458: E0511618 80010086
	buffer_load_dword v135, s[4:7], 0 offen offset:1820 lds    // 000000002460: E051171C 80010087
	s_mov_b32 m0, s37                                          // 000000002468: BEFC0025
	s_add_u32 s4, s25, s4                                      // 00000000246C: 80040419
	s_addc_u32 s5, 0, s5                                       // 000000002470: 82050580
	v_mov_b32_e32 v224, 0                                      // 000000002474: 7FC00280
	v_mov_b32_e32 v225, 0                                      // 000000002478: 7FC20280
	v_mov_b32_e32 v226, 0                                      // 00000000247C: 7FC40280
	v_mov_b32_e32 v227, 0                                      // 000000002480: 7FC60280
	v_mov_b32_e32 v228, 0                                      // 000000002484: 7FC80280
	v_mov_b32_e32 v229, 0                                      // 000000002488: 7FCA0280
	v_mov_b32_e32 v230, 0                                      // 00000000248C: 7FCC0280
	v_mov_b32_e32 v231, 0                                      // 000000002490: 7FCE0280
	v_mov_b32_e32 v232, 0                                      // 000000002494: 7FD00280
	v_mov_b32_e32 v233, 0                                      // 000000002498: 7FD20280
	v_mov_b32_e32 v234, 0                                      // 00000000249C: 7FD40280
	v_mov_b32_e32 v235, 0                                      // 0000000024A0: 7FD60280
	v_mov_b32_e32 v236, 0                                      // 0000000024A4: 7FD80280
	v_mov_b32_e32 v237, 0                                      // 0000000024A8: 7FDA0280
	v_mov_b32_e32 v238, 0                                      // 0000000024AC: 7FDC0280
	v_mov_b32_e32 v239, 0                                      // 0000000024B0: 7FDE0280
	v_mov_b32_e32 v240, 0                                      // 0000000024B4: 7FE00280
	v_mov_b32_e32 v241, 0                                      // 0000000024B8: 7FE20280
	v_mov_b32_e32 v242, 0                                      // 0000000024BC: 7FE40280
	v_mov_b32_e32 v243, 0                                      // 0000000024C0: 7FE60280
	v_mov_b32_e32 v244, 0                                      // 0000000024C4: 7FE80280
	v_mov_b32_e32 v245, 0                                      // 0000000024C8: 7FEA0280
	v_mov_b32_e32 v246, 0                                      // 0000000024CC: 7FEC0280
	v_mov_b32_e32 v247, 0                                      // 0000000024D0: 7FEE0280
	v_mov_b32_e32 v248, 0                                      // 0000000024D4: 7FF00280
	v_mov_b32_e32 v249, 0                                      // 0000000024D8: 7FF20280
	v_mov_b32_e32 v250, 0                                      // 0000000024DC: 7FF40280
	v_mov_b32_e32 v251, 0                                      // 0000000024E0: 7FF60280
	v_mov_b32_e32 v252, 0                                      // 0000000024E4: 7FF80280
	v_mov_b32_e32 v253, 0                                      // 0000000024E8: 7FFA0280
	v_mov_b32_e32 v254, 0                                      // 0000000024EC: 7FFC0280
	v_mov_b32_e32 v255, 0                                      // 0000000024F0: 7FFE0280
	s_waitcnt vmcnt(12)                                        // 0000000024F4: BF8C0F7C
	s_barrier                                                  // 0000000024F8: BF8A0000
	ds_read_b32 v20, v4                                        // 0000000024FC: D86C0000 14000004
	ds_read_b32 v21, v4 offset:4                               // 000000002504: D86C0004 15000004
	ds_read_b32 v22, v4 offset:8                               // 00000000250C: D86C0008 16000004
	ds_read_b32 v23, v4 offset:12                              // 000000002514: D86C000C 17000004
	ds_read_b32 v24, v4 offset:32                              // 00000000251C: D86C0020 18000004
	ds_read_b32 v25, v4 offset:36                              // 000000002524: D86C0024 19000004
	ds_read_b32 v26, v4 offset:40                              // 00000000252C: D86C0028 1A000004
	ds_read_b32 v27, v4 offset:44                              // 000000002534: D86C002C 1B000004
	ds_read_b32 v28, v4 offset:64                              // 00000000253C: D86C0040 1C000004
	ds_read_b32 v29, v4 offset:68                              // 000000002544: D86C0044 1D000004
	ds_read_b32 v30, v4 offset:72                              // 00000000254C: D86C0048 1E000004
	ds_read_b32 v31, v4 offset:76                              // 000000002554: D86C004C 1F000004
	ds_read_b32 v32, v4 offset:96                              // 00000000255C: D86C0060 20000004
	ds_read_b32 v33, v4 offset:100                             // 000000002564: D86C0064 21000004
	ds_read_b32 v34, v4 offset:104                             // 00000000256C: D86C0068 22000004
	ds_read_b32 v35, v4 offset:108                             // 000000002574: D86C006C 23000004
	s_mul_i32 s20, s48, 8                                      // 00000000257C: 92148830
	s_mul_i32 s21, s47, 0x80                                   // 000000002580: 9215FF2F 00000080
	s_add_i32 s20, s21, s20                                    // 000000002588: 81141415
	s_mul_i32 s24, 0x100, s46                                  // 00000000258C: 92182EFF 00000100
	s_mul_i32 s21, s20, s45                                    // 000000002594: 92152D14
	s_add_i32 s24, s24, s21                                    // 000000002598: 81181518
	s_lshr_b32 s24, s24, 2                                     // 00000000259C: 8F188218
	v_add_u32_e64 v10, v0, s24                                 // 0000000025A0: D134000A 00003100
	s_mul_i32 s32, 24, s45                                     // 0000000025A8: 92202D98
	s_lshr_b32 s33, s45, 0                                     // 0000000025AC: 8F21802D
	v_lshlrev_b32_e32 v15, 2, v0                               // 0000000025B0: 241E0082
	s_mov_b32 s92, 0x208                                       // 0000000025B4: BEDC00FF 00000208
	s_mul_i32 s21, s48, 0x820                                  // 0000000025BC: 9215FF30 00000820
	v_add_u32_e32 v15, s21, v15                                // 0000000025C4: 681E1E15
	v_lshrrev_b32_e32 v100, 2, v0                              // 0000000025C8: 20C80082
	v_mul_i32_i24_e32 v100, 2, v100                            // 0000000025CC: 0CC8C882
	v_and_b32_e32 v102, 1, v0                                  // 0000000025D0: 26CC0081
	v_add_u32_e32 v102, v100, v102                             // 0000000025D4: 68CCCD64
	v_mul_i32_i24_e32 v102, 0x104, v102                        // 0000000025D8: 0CCCCCFF 00000104
	v_and_b32_e32 v101, 2, v0                                  // 0000000025E0: 26CA0082
	v_lshlrev_b32_e32 v16, 6, v101                             // 0000000025E4: 2420CA86
	v_add_u32_e32 v16, v102, v16                               // 0000000025E8: 68202166
	s_mul_i32 s20, s48, 32                                     // 0000000025EC: 9214A030
	v_add_u32_e32 v16, s20, v16                                // 0000000025F0: 68202014
	s_mov_b32 s91, 0x1860                                      // 0000000025F4: BEDB00FF 00001860
	s_mov_b32 s93, 0x2080                                      // 0000000025FC: BEDD00FF 00002080
	s_mul_i32 s20, s47, 0x80                                   // 000000002604: 9214FF2F 00000080
	s_mul_i32 s21, s48, 8                                      // 00000000260C: 92158830
	s_add_i32 s54, s20, s21                                    // 000000002610: 81361514
	s_mov_b32 s28, 0                                           // 000000002614: BE9C0080
	s_lshr_b32 s29, s42, 7                                     // 000000002618: 8F1D872A
	s_sub_u32 s55, s29, 2                                      // 00000000261C: 80B7821D
	s_cmp_lt_i32 s28, s29                                      // 000000002620: BF041D1C
	s_cbranch_scc0 label_03C1                                  // 000000002624: BF840237

0000000000002628 <label_018A>:
	s_waitcnt vmcnt(8)                                         // 000000002628: BF8C0F78
	s_waitcnt lgkmcnt(14)                                      // 00000000262C: BF8CCE7F
	v_mfma_i32_32x32x16_i8 v[192:207], a[0:1], v[20:21], v[192:207]// 000000002630: D3D600C0 0F022900
	buffer_load_dword v120, s[4:7], 0 offen lds                // 000000002638: E0511000 80010078
	ds_read_b32 v36, v4 offset:128                             // 000000002640: D86C0080 24000004
	ds_read_b32 v37, v4 offset:132                             // 000000002648: D86C0084 25000004
	s_waitcnt lgkmcnt(14)                                      // 000000002650: BF8CCE7F
	v_mfma_i32_32x32x16_i8 v[192:207], a[2:3], v[22:23], v[192:207]// 000000002654: D3D600C0 0F022D02
	buffer_load_dword v121, s[4:7], 0 offen offset:260 lds     // 00000000265C: E0511104 80010079
	ds_read_b32 v38, v4 offset:136                             // 000000002664: D86C0088 26000004
	ds_read_b32 v39, v4 offset:140                             // 00000000266C: D86C008C 27000004
	s_waitcnt lgkmcnt(14)                                      // 000000002674: BF8CCE7F
	v_mfma_i32_32x32x16_i8 v[192:207], a[4:5], v[24:25], v[192:207]// 000000002678: D3D600C0 0F023104
	buffer_load_dword v122, s[4:7], 0 offen offset:520 lds     // 000000002680: E0511208 8001007A
	ds_read_b32 v40, v4 offset:160                             // 000000002688: D86C00A0 28000004
	ds_read_b32 v41, v4 offset:164                             // 000000002690: D86C00A4 29000004
	s_waitcnt lgkmcnt(14)                                      // 000000002698: BF8CCE7F
	v_mfma_i32_32x32x16_i8 v[192:207], a[6:7], v[26:27], v[192:207]// 00000000269C: D3D600C0 0F023506
	buffer_load_dword v123, s[4:7], 0 offen offset:780 lds     // 0000000026A4: E051130C 8001007B
	ds_read_b32 v42, v4 offset:168                             // 0000000026AC: D86C00A8 2A000004
	ds_read_b32 v43, v4 offset:172                             // 0000000026B4: D86C00AC 2B000004
	s_waitcnt lgkmcnt(14)                                      // 0000000026BC: BF8CCE7F
	v_mfma_i32_32x32x16_i8 v[192:207], a[8:9], v[28:29], v[192:207]// 0000000026C0: D3D600C0 0F023908
	buffer_load_dword v124, s[4:7], 0 offen offset:1040 lds    // 0000000026C8: E0511410 8001007C
	ds_read_b32 v44, v4 offset:192                             // 0000000026D0: D86C00C0 2C000004
	ds_read_b32 v45, v4 offset:196                             // 0000000026D8: D86C00C4 2D000004
	s_waitcnt lgkmcnt(14)                                      // 0000000026E0: BF8CCE7F
	v_mfma_i32_32x32x16_i8 v[192:207], a[10:11], v[30:31], v[192:207]// 0000000026E4: D3D600C0 0F023D0A
	buffer_load_dword v125, s[4:7], 0 offen offset:1300 lds    // 0000000026EC: E0511514 8001007D
	ds_read_b32 v46, v4 offset:200                             // 0000000026F4: D86C00C8 2E000004
	ds_read_b32 v47, v4 offset:204                             // 0000000026FC: D86C00CC 2F000004
	s_waitcnt lgkmcnt(14)                                      // 000000002704: BF8CCE7F
	v_mfma_i32_32x32x16_i8 v[192:207], a[12:13], v[32:33], v[192:207]// 000000002708: D3D600C0 0F02410C
	buffer_load_dword v126, s[4:7], 0 offen offset:1560 lds    // 000000002710: E0511618 8001007E
	ds_read_b32 v48, v4 offset:224                             // 000000002718: D86C00E0 30000004
	ds_read_b32 v49, v4 offset:228                             // 000000002720: D86C00E4 31000004
	s_waitcnt lgkmcnt(14)                                      // 000000002728: BF8CCE7F
	v_mfma_i32_32x32x16_i8 v[192:207], a[14:15], v[34:35], v[192:207]// 00000000272C: D3D600C0 0F02450E
	buffer_load_dword v127, s[4:7], 0 offen offset:1820 lds    // 000000002734: E051171C 8001007F
	ds_read_b32 v50, v4 offset:232                             // 00000000273C: D86C00E8 32000004
	ds_read_b32 v51, v4 offset:236                             // 000000002744: D86C00EC 33000004
	s_waitcnt vmcnt(8)                                         // 00000000274C: BF8C0F78
	s_barrier                                                  // 000000002750: BF8A0000
	s_waitcnt lgkmcnt(14)                                      // 000000002754: BF8CCE7F
	v_mfma_i32_32x32x16_i8 v[208:223], a[0:1], v[36:37], v[208:223]// 000000002758: D3D600D0 0F424900
	s_add_i32 m0, m0, 0x2080                                   // 000000002760: 817CFF7C 00002080
	buffer_load_dwordx4 a[16:19], v8, s[8:11], 0 offen         // 000000002768: E05C1000 80821008
	ds_read_b32 v52, v4 offset:8320                            // 000000002770: D86C2080 34000004
	ds_read_b32 v53, v4 offset:8324                            // 000000002778: D86C2084 35000004
	s_waitcnt lgkmcnt(14)                                      // 000000002780: BF8CCE7F
	v_mfma_i32_32x32x16_i8 v[208:223], a[2:3], v[38:39], v[208:223]// 000000002784: D3D600D0 0F424D02
	ds_read_b32 v54, v4 offset:8328                            // 00000000278C: D86C2088 36000004
	ds_read_b32 v55, v4 offset:8332                            // 000000002794: D86C208C 37000004
	s_waitcnt lgkmcnt(14)                                      // 00000000279C: BF8CCE7F
	v_mfma_i32_32x32x16_i8 v[208:223], a[4:5], v[40:41], v[208:223]// 0000000027A0: D3D600D0 0F425104
	buffer_load_dwordx4 a[20:23], v8, s[8:11], 0 offen offset:1024// 0000000027A8: E05C1400 80821408
	ds_read_b32 v56, v4 offset:8352                            // 0000000027B0: D86C20A0 38000004
	ds_read_b32 v57, v4 offset:8356                            // 0000000027B8: D86C20A4 39000004
	s_waitcnt lgkmcnt(14)                                      // 0000000027C0: BF8CCE7F
	v_mfma_i32_32x32x16_i8 v[208:223], a[6:7], v[42:43], v[208:223]// 0000000027C4: D3D600D0 0F425506
	ds_read_b32 v58, v4 offset:8360                            // 0000000027CC: D86C20A8 3A000004
	ds_read_b32 v59, v4 offset:8364                            // 0000000027D4: D86C20AC 3B000004
	s_waitcnt lgkmcnt(14)                                      // 0000000027DC: BF8CCE7F
	v_mfma_i32_32x32x16_i8 v[208:223], a[8:9], v[44:45], v[208:223]// 0000000027E0: D3D600D0 0F425908
	buffer_load_dwordx4 a[24:27], v8, s[8:11], 0 offen offset:2048// 0000000027E8: E05C1800 80821808
	ds_read_b32 v60, v4 offset:8384                            // 0000000027F0: D86C20C0 3C000004
	ds_read_b32 v61, v4 offset:8388                            // 0000000027F8: D86C20C4 3D000004
	s_waitcnt lgkmcnt(14)                                      // 000000002800: BF8CCE7F
	v_mfma_i32_32x32x16_i8 v[208:223], a[10:11], v[46:47], v[208:223]// 000000002804: D3D600D0 0F425D0A
	ds_read_b32 v62, v4 offset:8392                            // 00000000280C: D86C20C8 3E000004
	ds_read_b32 v63, v4 offset:8396                            // 000000002814: D86C20CC 3F000004
	s_waitcnt lgkmcnt(14)                                      // 00000000281C: BF8CCE7F
	v_mfma_i32_32x32x16_i8 v[208:223], a[12:13], v[48:49], v[208:223]// 000000002820: D3D600D0 0F42610C
	buffer_load_dwordx4 a[28:31], v8, s[8:11], 0 offen offset:3072// 000000002828: E05C1C00 80821C08
	ds_read_b32 v64, v4 offset:8416                            // 000000002830: D86C20E0 40000004
	ds_read_b32 v65, v4 offset:8420                            // 000000002838: D86C20E4 41000004
	s_waitcnt lgkmcnt(14)                                      // 000000002840: BF8CCE7F
	v_mfma_i32_32x32x16_i8 v[208:223], a[14:15], v[50:51], v[208:223]// 000000002844: D3D600D0 0F42650E
	ds_read_b32 v66, v4 offset:8424                            // 00000000284C: D86C20E8 42000004
	ds_read_b32 v67, v4 offset:8428                            // 000000002854: D86C20EC 43000004
	s_cmp_ge_u32 s28, s55                                      // 00000000285C: BF09371C
	s_cselect_b32 s26, 0, s26                                  // 000000002860: 851A1A80
	s_add_u32 s8, s26, s8                                      // 000000002864: 8008081A
	s_addc_u32 s9, 0, s9                                       // 000000002868: 82090980
	s_waitcnt lgkmcnt(14)                                      // 00000000286C: BF8CCE7F
	v_mfma_i32_32x32x16_i8 v[224:239], a[0:1], v[52:53], v[224:239]// 000000002870: D3D600E0 0F826900
	buffer_load_dword v128, s[4:7], 0 offen lds                // 000000002878: E0511000 80010080
	ds_read_b32 v68, v4 offset:8448                            // 000000002880: D86C2100 44000004
	ds_read_b32 v69, v4 offset:8452                            // 000000002888: D86C2104 45000004
	s_waitcnt lgkmcnt(14)                                      // 000000002890: BF8CCE7F
	v_mfma_i32_32x32x16_i8 v[224:239], a[2:3], v[54:55], v[224:239]// 000000002894: D3D600E0 0F826D02
	buffer_load_dword v129, s[4:7], 0 offen offset:260 lds     // 00000000289C: E0511104 80010081
	ds_read_b32 v70, v4 offset:8456                            // 0000000028A4: D86C2108 46000004
	ds_read_b32 v71, v4 offset:8460                            // 0000000028AC: D86C210C 47000004
	s_waitcnt lgkmcnt(14)                                      // 0000000028B4: BF8CCE7F
	v_mfma_i32_32x32x16_i8 v[224:239], a[4:5], v[56:57], v[224:239]// 0000000028B8: D3D600E0 0F827104
	buffer_load_dword v130, s[4:7], 0 offen offset:520 lds     // 0000000028C0: E0511208 80010082
	ds_read_b32 v72, v4 offset:8480                            // 0000000028C8: D86C2120 48000004
	ds_read_b32 v73, v4 offset:8484                            // 0000000028D0: D86C2124 49000004
	s_waitcnt lgkmcnt(14)                                      // 0000000028D8: BF8CCE7F
	v_mfma_i32_32x32x16_i8 v[224:239], a[6:7], v[58:59], v[224:239]// 0000000028DC: D3D600E0 0F827506
	buffer_load_dword v131, s[4:7], 0 offen offset:780 lds     // 0000000028E4: E051130C 80010083
	ds_read_b32 v74, v4 offset:8488                            // 0000000028EC: D86C2128 4A000004
	ds_read_b32 v75, v4 offset:8492                            // 0000000028F4: D86C212C 4B000004
	s_waitcnt lgkmcnt(14)                                      // 0000000028FC: BF8CCE7F
	v_mfma_i32_32x32x16_i8 v[224:239], a[8:9], v[60:61], v[224:239]// 000000002900: D3D600E0 0F827908
	buffer_load_dword v132, s[4:7], 0 offen offset:1040 lds    // 000000002908: E0511410 80010084
	ds_read_b32 v76, v4 offset:8512                            // 000000002910: D86C2140 4C000004
	ds_read_b32 v77, v4 offset:8516                            // 000000002918: D86C2144 4D000004
	s_waitcnt lgkmcnt(14)                                      // 000000002920: BF8CCE7F
	v_mfma_i32_32x32x16_i8 v[224:239], a[10:11], v[62:63], v[224:239]// 000000002924: D3D600E0 0F827D0A
	buffer_load_dword v133, s[4:7], 0 offen offset:1300 lds    // 00000000292C: E0511514 80010085
	ds_read_b32 v78, v4 offset:8520                            // 000000002934: D86C2148 4E000004
	ds_read_b32 v79, v4 offset:8524                            // 00000000293C: D86C214C 4F000004
	s_waitcnt lgkmcnt(14)                                      // 000000002944: BF8CCE7F
	v_mfma_i32_32x32x16_i8 v[224:239], a[12:13], v[64:65], v[224:239]// 000000002948: D3D600E0 0F82810C
	buffer_load_dword v134, s[4:7], 0 offen offset:1560 lds    // 000000002950: E0511618 80010086
	ds_read_b32 v80, v4 offset:8544                            // 000000002958: D86C2160 50000004
	ds_read_b32 v81, v4 offset:8548                            // 000000002960: D86C2164 51000004
	s_waitcnt lgkmcnt(14)                                      // 000000002968: BF8CCE7F
	v_mfma_i32_32x32x16_i8 v[224:239], a[14:15], v[66:67], v[224:239]// 00000000296C: D3D600E0 0F82850E
	buffer_load_dword v135, s[4:7], 0 offen offset:1820 lds    // 000000002974: E051171C 80010087
	ds_read_b32 v82, v4 offset:8552                            // 00000000297C: D86C2168 52000004
	ds_read_b32 v83, v4 offset:8556                            // 000000002984: D86C216C 53000004
	s_mov_b32 m0, s36                                          // 00000000298C: BEFC0024
	s_waitcnt vmcnt(12)                                        // 000000002990: BF8C0F7C
	s_barrier                                                  // 000000002994: BF8A0000
	s_waitcnt lgkmcnt(14)                                      // 000000002998: BF8CCE7F
	v_mfma_i32_32x32x16_i8 v[240:255], a[0:1], v[68:69], v[240:255]// 00000000299C: D3D600F0 0FC28900
	ds_read_b32 v20, v5                                        // 0000000029A4: D86C0000 14000005
	ds_read_b32 v21, v5 offset:4                               // 0000000029AC: D86C0004 15000005
	s_cmp_ge_u32 s28, s55                                      // 0000000029B4: BF09371C
	s_cselect_b32 s25, 0, s25                                  // 0000000029B8: 85191980
	s_waitcnt lgkmcnt(14)                                      // 0000000029BC: BF8CCE7F
	v_mfma_i32_32x32x16_i8 v[240:255], a[2:3], v[70:71], v[240:255]// 0000000029C0: D3D600F0 0FC28D02
	ds_read_b32 v22, v5 offset:8                               // 0000000029C8: D86C0008 16000005
	ds_read_b32 v23, v5 offset:12                              // 0000000029D0: D86C000C 17000005
	s_add_u32 s4, s25, s4                                      // 0000000029D8: 80040419
	s_addc_u32 s5, 0, s5                                       // 0000000029DC: 82050580
	s_waitcnt lgkmcnt(14)                                      // 0000000029E0: BF8CCE7F
	v_mfma_i32_32x32x16_i8 v[240:255], a[4:5], v[72:73], v[240:255]// 0000000029E4: D3D600F0 0FC29104
	ds_read_b32 v24, v5 offset:32                              // 0000000029EC: D86C0020 18000005
	ds_read_b32 v25, v5 offset:36                              // 0000000029F4: D86C0024 19000005
	s_waitcnt lgkmcnt(14)                                      // 0000000029FC: BF8CCE7F
	v_mfma_i32_32x32x16_i8 v[240:255], a[6:7], v[74:75], v[240:255]// 000000002A00: D3D600F0 0FC29506
	ds_read_b32 v26, v5 offset:40                              // 000000002A08: D86C0028 1A000005
	ds_read_b32 v27, v5 offset:44                              // 000000002A10: D86C002C 1B000005
	s_waitcnt lgkmcnt(14)                                      // 000000002A18: BF8CCE7F
	v_mfma_i32_32x32x16_i8 v[240:255], a[8:9], v[76:77], v[240:255]// 000000002A1C: D3D600F0 0FC29908
	ds_read_b32 v28, v5 offset:64                              // 000000002A24: D86C0040 1C000005
	ds_read_b32 v29, v5 offset:68                              // 000000002A2C: D86C0044 1D000005
	s_waitcnt lgkmcnt(14)                                      // 000000002A34: BF8CCE7F
	v_mfma_i32_32x32x16_i8 v[240:255], a[10:11], v[78:79], v[240:255]// 000000002A38: D3D600F0 0FC29D0A
	ds_read_b32 v30, v5 offset:72                              // 000000002A40: D86C0048 1E000005
	ds_read_b32 v31, v5 offset:76                              // 000000002A48: D86C004C 1F000005
	s_waitcnt lgkmcnt(14)                                      // 000000002A50: BF8CCE7F
	v_mfma_i32_32x32x16_i8 v[240:255], a[12:13], v[80:81], v[240:255]// 000000002A54: D3D600F0 0FC2A10C
	ds_read_b32 v32, v5 offset:96                              // 000000002A5C: D86C0060 20000005
	ds_read_b32 v33, v5 offset:100                             // 000000002A64: D86C0064 21000005
	s_waitcnt lgkmcnt(14)                                      // 000000002A6C: BF8CCE7F
	v_mfma_i32_32x32x16_i8 v[240:255], a[14:15], v[82:83], v[240:255]// 000000002A70: D3D600F0 0FC2A50E
	ds_read_b32 v34, v5 offset:104                             // 000000002A78: D86C0068 22000005
	ds_read_b32 v35, v5 offset:108                             // 000000002A80: D86C006C 23000005
	s_addk_i32 s28, 0x1                                        // 000000002A88: B71C0001
	s_cmp_lt_i32 s28, s29                                      // 000000002A8C: BF041D1C
	s_cbranch_scc0 label_03C1                                  // 000000002A90: BF84011C
	s_waitcnt vmcnt(8)                                         // 000000002A94: BF8C0F78
	s_waitcnt lgkmcnt(14)                                      // 000000002A98: BF8CCE7F
	v_mfma_i32_32x32x16_i8 v[192:207], a[16:17], v[20:21], v[192:207]// 000000002A9C: D3D600C0 0F022910
	buffer_load_dword v120, s[4:7], 0 offen lds                // 000000002AA4: E0511000 80010078
	ds_read_b32 v36, v5 offset:128                             // 000000002AAC: D86C0080 24000005
	ds_read_b32 v37, v5 offset:132                             // 000000002AB4: D86C0084 25000005
	s_waitcnt lgkmcnt(14)                                      // 000000002ABC: BF8CCE7F
	v_mfma_i32_32x32x16_i8 v[192:207], a[18:19], v[22:23], v[192:207]// 000000002AC0: D3D600C0 0F022D12
	buffer_load_dword v121, s[4:7], 0 offen offset:260 lds     // 000000002AC8: E0511104 80010079
	ds_read_b32 v38, v5 offset:136                             // 000000002AD0: D86C0088 26000005
	ds_read_b32 v39, v5 offset:140                             // 000000002AD8: D86C008C 27000005
	s_waitcnt lgkmcnt(14)                                      // 000000002AE0: BF8CCE7F
	v_mfma_i32_32x32x16_i8 v[192:207], a[20:21], v[24:25], v[192:207]// 000000002AE4: D3D600C0 0F023114
	buffer_load_dword v122, s[4:7], 0 offen offset:520 lds     // 000000002AEC: E0511208 8001007A
	ds_read_b32 v40, v5 offset:160                             // 000000002AF4: D86C00A0 28000005
	ds_read_b32 v41, v5 offset:164                             // 000000002AFC: D86C00A4 29000005
	s_waitcnt lgkmcnt(14)                                      // 000000002B04: BF8CCE7F
	v_mfma_i32_32x32x16_i8 v[192:207], a[22:23], v[26:27], v[192:207]// 000000002B08: D3D600C0 0F023516
	buffer_load_dword v123, s[4:7], 0 offen offset:780 lds     // 000000002B10: E051130C 8001007B
	ds_read_b32 v42, v5 offset:168                             // 000000002B18: D86C00A8 2A000005
	ds_read_b32 v43, v5 offset:172                             // 000000002B20: D86C00AC 2B000005
	s_waitcnt lgkmcnt(14)                                      // 000000002B28: BF8CCE7F
	v_mfma_i32_32x32x16_i8 v[192:207], a[24:25], v[28:29], v[192:207]// 000000002B2C: D3D600C0 0F023918
	buffer_load_dword v124, s[4:7], 0 offen offset:1040 lds    // 000000002B34: E0511410 8001007C
	ds_read_b32 v44, v5 offset:192                             // 000000002B3C: D86C00C0 2C000005
	ds_read_b32 v45, v5 offset:196                             // 000000002B44: D86C00C4 2D000005
	s_waitcnt lgkmcnt(14)                                      // 000000002B4C: BF8CCE7F
	v_mfma_i32_32x32x16_i8 v[192:207], a[26:27], v[30:31], v[192:207]// 000000002B50: D3D600C0 0F023D1A
	buffer_load_dword v125, s[4:7], 0 offen offset:1300 lds    // 000000002B58: E0511514 8001007D
	ds_read_b32 v46, v5 offset:200                             // 000000002B60: D86C00C8 2E000005
	ds_read_b32 v47, v5 offset:204                             // 000000002B68: D86C00CC 2F000005
	s_waitcnt lgkmcnt(14)                                      // 000000002B70: BF8CCE7F
	v_mfma_i32_32x32x16_i8 v[192:207], a[28:29], v[32:33], v[192:207]// 000000002B74: D3D600C0 0F02411C
	buffer_load_dword v126, s[4:7], 0 offen offset:1560 lds    // 000000002B7C: E0511618 8001007E
	ds_read_b32 v48, v5 offset:224                             // 000000002B84: D86C00E0 30000005
	ds_read_b32 v49, v5 offset:228                             // 000000002B8C: D86C00E4 31000005
	s_waitcnt lgkmcnt(14)                                      // 000000002B94: BF8CCE7F
	v_mfma_i32_32x32x16_i8 v[192:207], a[30:31], v[34:35], v[192:207]// 000000002B98: D3D600C0 0F02451E
	buffer_load_dword v127, s[4:7], 0 offen offset:1820 lds    // 000000002BA0: E051171C 8001007F
	ds_read_b32 v50, v5 offset:232                             // 000000002BA8: D86C00E8 32000005
	ds_read_b32 v51, v5 offset:236                             // 000000002BB0: D86C00EC 33000005
	s_waitcnt vmcnt(8)                                         // 000000002BB8: BF8C0F78
	s_barrier                                                  // 000000002BBC: BF8A0000
	s_waitcnt lgkmcnt(14)                                      // 000000002BC0: BF8CCE7F
	v_mfma_i32_32x32x16_i8 v[208:223], a[16:17], v[36:37], v[208:223]// 000000002BC4: D3D600D0 0F424910
	s_add_i32 m0, m0, 0x2080                                   // 000000002BCC: 817CFF7C 00002080
	buffer_load_dwordx4 a[0:3], v8, s[8:11], 0 offen           // 000000002BD4: E05C1000 80820008
	ds_read_b32 v52, v5 offset:8320                            // 000000002BDC: D86C2080 34000005
	ds_read_b32 v53, v5 offset:8324                            // 000000002BE4: D86C2084 35000005
	s_waitcnt lgkmcnt(14)                                      // 000000002BEC: BF8CCE7F
	v_mfma_i32_32x32x16_i8 v[208:223], a[18:19], v[38:39], v[208:223]// 000000002BF0: D3D600D0 0F424D12
	ds_read_b32 v54, v5 offset:8328                            // 000000002BF8: D86C2088 36000005
	ds_read_b32 v55, v5 offset:8332                            // 000000002C00: D86C208C 37000005
	s_waitcnt lgkmcnt(14)                                      // 000000002C08: BF8CCE7F
	v_mfma_i32_32x32x16_i8 v[208:223], a[20:21], v[40:41], v[208:223]// 000000002C0C: D3D600D0 0F425114
	buffer_load_dwordx4 a[4:7], v8, s[8:11], 0 offen offset:1024// 000000002C14: E05C1400 80820408
	ds_read_b32 v56, v5 offset:8352                            // 000000002C1C: D86C20A0 38000005
	ds_read_b32 v57, v5 offset:8356                            // 000000002C24: D86C20A4 39000005
	s_waitcnt lgkmcnt(14)                                      // 000000002C2C: BF8CCE7F
	v_mfma_i32_32x32x16_i8 v[208:223], a[22:23], v[42:43], v[208:223]// 000000002C30: D3D600D0 0F425516
	ds_read_b32 v58, v5 offset:8360                            // 000000002C38: D86C20A8 3A000005
	ds_read_b32 v59, v5 offset:8364                            // 000000002C40: D86C20AC 3B000005
	s_waitcnt lgkmcnt(14)                                      // 000000002C48: BF8CCE7F
	v_mfma_i32_32x32x16_i8 v[208:223], a[24:25], v[44:45], v[208:223]// 000000002C4C: D3D600D0 0F425918
	buffer_load_dwordx4 a[8:11], v8, s[8:11], 0 offen offset:2048// 000000002C54: E05C1800 80820808
	ds_read_b32 v60, v5 offset:8384                            // 000000002C5C: D86C20C0 3C000005
	ds_read_b32 v61, v5 offset:8388                            // 000000002C64: D86C20C4 3D000005
	s_waitcnt lgkmcnt(14)                                      // 000000002C6C: BF8CCE7F
	v_mfma_i32_32x32x16_i8 v[208:223], a[26:27], v[46:47], v[208:223]// 000000002C70: D3D600D0 0F425D1A
	ds_read_b32 v62, v5 offset:8392                            // 000000002C78: D86C20C8 3E000005
	ds_read_b32 v63, v5 offset:8396                            // 000000002C80: D86C20CC 3F000005
	s_waitcnt lgkmcnt(14)                                      // 000000002C88: BF8CCE7F
	v_mfma_i32_32x32x16_i8 v[208:223], a[28:29], v[48:49], v[208:223]// 000000002C8C: D3D600D0 0F42611C
	buffer_load_dwordx4 a[12:15], v8, s[8:11], 0 offen offset:3072// 000000002C94: E05C1C00 80820C08
	ds_read_b32 v64, v5 offset:8416                            // 000000002C9C: D86C20E0 40000005
	ds_read_b32 v65, v5 offset:8420                            // 000000002CA4: D86C20E4 41000005
	s_waitcnt lgkmcnt(14)                                      // 000000002CAC: BF8CCE7F
	v_mfma_i32_32x32x16_i8 v[208:223], a[30:31], v[50:51], v[208:223]// 000000002CB0: D3D600D0 0F42651E
	ds_read_b32 v66, v5 offset:8424                            // 000000002CB8: D86C20E8 42000005
	ds_read_b32 v67, v5 offset:8428                            // 000000002CC0: D86C20EC 43000005
	s_cmp_ge_u32 s28, s55                                      // 000000002CC8: BF09371C
	s_cselect_b32 s26, 0, s26                                  // 000000002CCC: 851A1A80
	s_add_u32 s8, s26, s8                                      // 000000002CD0: 8008081A
	s_addc_u32 s9, 0, s9                                       // 000000002CD4: 82090980
	s_waitcnt lgkmcnt(14)                                      // 000000002CD8: BF8CCE7F
	v_mfma_i32_32x32x16_i8 v[224:239], a[16:17], v[52:53], v[224:239]// 000000002CDC: D3D600E0 0F826910
	buffer_load_dword v128, s[4:7], 0 offen lds                // 000000002CE4: E0511000 80010080
	ds_read_b32 v68, v5 offset:8448                            // 000000002CEC: D86C2100 44000005
	ds_read_b32 v69, v5 offset:8452                            // 000000002CF4: D86C2104 45000005
	s_waitcnt lgkmcnt(14)                                      // 000000002CFC: BF8CCE7F
	v_mfma_i32_32x32x16_i8 v[224:239], a[18:19], v[54:55], v[224:239]// 000000002D00: D3D600E0 0F826D12
	buffer_load_dword v129, s[4:7], 0 offen offset:260 lds     // 000000002D08: E0511104 80010081
	ds_read_b32 v70, v5 offset:8456                            // 000000002D10: D86C2108 46000005
	ds_read_b32 v71, v5 offset:8460                            // 000000002D18: D86C210C 47000005
	s_waitcnt lgkmcnt(14)                                      // 000000002D20: BF8CCE7F
	v_mfma_i32_32x32x16_i8 v[224:239], a[20:21], v[56:57], v[224:239]// 000000002D24: D3D600E0 0F827114
	buffer_load_dword v130, s[4:7], 0 offen offset:520 lds     // 000000002D2C: E0511208 80010082
	ds_read_b32 v72, v5 offset:8480                            // 000000002D34: D86C2120 48000005
	ds_read_b32 v73, v5 offset:8484                            // 000000002D3C: D86C2124 49000005
	s_waitcnt lgkmcnt(14)                                      // 000000002D44: BF8CCE7F
	v_mfma_i32_32x32x16_i8 v[224:239], a[22:23], v[58:59], v[224:239]// 000000002D48: D3D600E0 0F827516
	buffer_load_dword v131, s[4:7], 0 offen offset:780 lds     // 000000002D50: E051130C 80010083
	ds_read_b32 v74, v5 offset:8488                            // 000000002D58: D86C2128 4A000005
	ds_read_b32 v75, v5 offset:8492                            // 000000002D60: D86C212C 4B000005
	s_waitcnt lgkmcnt(14)                                      // 000000002D68: BF8CCE7F
	v_mfma_i32_32x32x16_i8 v[224:239], a[24:25], v[60:61], v[224:239]// 000000002D6C: D3D600E0 0F827918
	buffer_load_dword v132, s[4:7], 0 offen offset:1040 lds    // 000000002D74: E0511410 80010084
	ds_read_b32 v76, v5 offset:8512                            // 000000002D7C: D86C2140 4C000005
	ds_read_b32 v77, v5 offset:8516                            // 000000002D84: D86C2144 4D000005
	s_waitcnt lgkmcnt(14)                                      // 000000002D8C: BF8CCE7F
	v_mfma_i32_32x32x16_i8 v[224:239], a[26:27], v[62:63], v[224:239]// 000000002D90: D3D600E0 0F827D1A
	buffer_load_dword v133, s[4:7], 0 offen offset:1300 lds    // 000000002D98: E0511514 80010085
	ds_read_b32 v78, v5 offset:8520                            // 000000002DA0: D86C2148 4E000005
	ds_read_b32 v79, v5 offset:8524                            // 000000002DA8: D86C214C 4F000005
	s_waitcnt lgkmcnt(14)                                      // 000000002DB0: BF8CCE7F
	v_mfma_i32_32x32x16_i8 v[224:239], a[28:29], v[64:65], v[224:239]// 000000002DB4: D3D600E0 0F82811C
	buffer_load_dword v134, s[4:7], 0 offen offset:1560 lds    // 000000002DBC: E0511618 80010086
	ds_read_b32 v80, v5 offset:8544                            // 000000002DC4: D86C2160 50000005
	ds_read_b32 v81, v5 offset:8548                            // 000000002DCC: D86C2164 51000005
	s_waitcnt lgkmcnt(14)                                      // 000000002DD4: BF8CCE7F
	v_mfma_i32_32x32x16_i8 v[224:239], a[30:31], v[66:67], v[224:239]// 000000002DD8: D3D600E0 0F82851E
	buffer_load_dword v135, s[4:7], 0 offen offset:1820 lds    // 000000002DE0: E051171C 80010087
	ds_read_b32 v82, v5 offset:8552                            // 000000002DE8: D86C2168 52000005
	ds_read_b32 v83, v5 offset:8556                            // 000000002DF0: D86C216C 53000005
	s_mov_b32 m0, s37                                          // 000000002DF8: BEFC0025
	s_waitcnt vmcnt(12)                                        // 000000002DFC: BF8C0F7C
	s_barrier                                                  // 000000002E00: BF8A0000
	s_waitcnt lgkmcnt(14)                                      // 000000002E04: BF8CCE7F
	v_mfma_i32_32x32x16_i8 v[240:255], a[16:17], v[68:69], v[240:255]// 000000002E08: D3D600F0 0FC28910
	ds_read_b32 v20, v4                                        // 000000002E10: D86C0000 14000004
	ds_read_b32 v21, v4 offset:4                               // 000000002E18: D86C0004 15000004
	s_cmp_ge_u32 s28, s55                                      // 000000002E20: BF09371C
	s_cselect_b32 s25, 0, s25                                  // 000000002E24: 85191980
	s_waitcnt lgkmcnt(14)                                      // 000000002E28: BF8CCE7F
	v_mfma_i32_32x32x16_i8 v[240:255], a[18:19], v[70:71], v[240:255]// 000000002E2C: D3D600F0 0FC28D12
	ds_read_b32 v22, v4 offset:8                               // 000000002E34: D86C0008 16000004
	ds_read_b32 v23, v4 offset:12                              // 000000002E3C: D86C000C 17000004
	s_add_u32 s4, s25, s4                                      // 000000002E44: 80040419
	s_addc_u32 s5, 0, s5                                       // 000000002E48: 82050580
	s_waitcnt lgkmcnt(14)                                      // 000000002E4C: BF8CCE7F
	v_mfma_i32_32x32x16_i8 v[240:255], a[20:21], v[72:73], v[240:255]// 000000002E50: D3D600F0 0FC29114
	ds_read_b32 v24, v4 offset:32                              // 000000002E58: D86C0020 18000004
	ds_read_b32 v25, v4 offset:36                              // 000000002E60: D86C0024 19000004
	s_waitcnt lgkmcnt(14)                                      // 000000002E68: BF8CCE7F
	v_mfma_i32_32x32x16_i8 v[240:255], a[22:23], v[74:75], v[240:255]// 000000002E6C: D3D600F0 0FC29516
	ds_read_b32 v26, v4 offset:40                              // 000000002E74: D86C0028 1A000004
	ds_read_b32 v27, v4 offset:44                              // 000000002E7C: D86C002C 1B000004
	s_waitcnt lgkmcnt(14)                                      // 000000002E84: BF8CCE7F
	v_mfma_i32_32x32x16_i8 v[240:255], a[24:25], v[76:77], v[240:255]// 000000002E88: D3D600F0 0FC29918
	ds_read_b32 v28, v4 offset:64                              // 000000002E90: D86C0040 1C000004
	ds_read_b32 v29, v4 offset:68                              // 000000002E98: D86C0044 1D000004
	s_waitcnt lgkmcnt(14)                                      // 000000002EA0: BF8CCE7F
	v_mfma_i32_32x32x16_i8 v[240:255], a[26:27], v[78:79], v[240:255]// 000000002EA4: D3D600F0 0FC29D1A
	ds_read_b32 v30, v4 offset:72                              // 000000002EAC: D86C0048 1E000004
	ds_read_b32 v31, v4 offset:76                              // 000000002EB4: D86C004C 1F000004
	s_waitcnt lgkmcnt(14)                                      // 000000002EBC: BF8CCE7F
	v_mfma_i32_32x32x16_i8 v[240:255], a[28:29], v[80:81], v[240:255]// 000000002EC0: D3D600F0 0FC2A11C
	ds_read_b32 v32, v4 offset:96                              // 000000002EC8: D86C0060 20000004
	ds_read_b32 v33, v4 offset:100                             // 000000002ED0: D86C0064 21000004
	s_waitcnt lgkmcnt(14)                                      // 000000002ED8: BF8CCE7F
	v_mfma_i32_32x32x16_i8 v[240:255], a[30:31], v[82:83], v[240:255]// 000000002EDC: D3D600F0 0FC2A51E
	ds_read_b32 v34, v4 offset:104                             // 000000002EE4: D86C0068 22000004
	ds_read_b32 v35, v4 offset:108                             // 000000002EEC: D86C006C 23000004
	s_addk_i32 s28, 0x1                                        // 000000002EF4: B71C0001
	s_cmp_lt_i32 s28, s29                                      // 000000002EF8: BF041D1C
	s_cbranch_scc0 label_03C1                                  // 000000002EFC: BF840001
	s_branch label_018A                                        // 000000002F00: BF82FDC9

0000000000002f04 <label_03C1>:
	v_lshlrev_b32_e32 v10, 2, v10                              // 000000002F04: 24141482
	v_cvt_f32_i32_e32 v84, v192                                // 000000002F08: 7EA80BC0
	v_mul_f32_e32 v100, v104, v84                              // 000000002F0C: 0AC8A968
	v_mul_f32_dpp v101, v108, v100 row_newbcast:0 row_mask:0xf bank_mask:0xf// 000000002F10: 0ACAC8FA FF01506C
	v_add_f32_dpp v116, v109, v101 row_newbcast:0 row_mask:0xf bank_mask:0xf// 000000002F18: 02E8CAFA FF01506D
	v_cvt_f32_i32_e32 v85, v193                                // 000000002F20: 7EAA0BC1
	v_mul_f32_e32 v100, v104, v85                              // 000000002F24: 0AC8AB68
	v_mul_f32_dpp v101, v108, v100 row_newbcast:1 row_mask:0xf bank_mask:0xf// 000000002F28: 0ACAC8FA FF01516C
	v_add_f32_dpp v117, v109, v101 row_newbcast:1 row_mask:0xf bank_mask:0xf// 000000002F30: 02EACAFA FF01516D
	v_cvt_f32_i32_e32 v86, v194                                // 000000002F38: 7EAC0BC2
	v_mul_f32_e32 v100, v104, v86                              // 000000002F3C: 0AC8AD68
	v_mul_f32_dpp v101, v108, v100 row_newbcast:2 row_mask:0xf bank_mask:0xf// 000000002F40: 0ACAC8FA FF01526C
	v_add_f32_dpp v118, v109, v101 row_newbcast:2 row_mask:0xf bank_mask:0xf// 000000002F48: 02ECCAFA FF01526D
	v_cvt_f32_i32_e32 v87, v195                                // 000000002F50: 7EAE0BC3
	v_mul_f32_e32 v100, v104, v87                              // 000000002F54: 0AC8AF68
	v_mul_f32_dpp v101, v108, v100 row_newbcast:3 row_mask:0xf bank_mask:0xf// 000000002F58: 0ACAC8FA FF01536C
	v_add_f32_dpp v119, v109, v101 row_newbcast:3 row_mask:0xf bank_mask:0xf// 000000002F60: 02EECAFA FF01536D
	v_cmp_u_f32_e64 s[84:85], v116, v116                       // 000000002F68: D0480054 0002E974
	v_add3_u32 v112, v116, v115, 1                             // 000000002F70: D1FF0070 0206E774
	v_cndmask_b32_e64 v100, v112, v114, s[84:85]               // 000000002F78: D1000064 0152E570
	v_cmp_u_f32_e64 s[84:85], v117, v117                       // 000000002F80: D0480054 0002EB75
	v_add3_u32 v112, v117, v115, 1                             // 000000002F88: D1FF0070 0206E775
	v_cndmask_b32_e64 v101, v112, v114, s[84:85]               // 000000002F90: D1000065 0152E570
	v_perm_b32 v84, v101, v100, s71                            // 000000002F98: D1ED0054 011EC965
	v_cmp_u_f32_e64 s[84:85], v118, v118                       // 000000002FA0: D0480054 0002ED76
	v_add3_u32 v112, v118, v115, 1                             // 000000002FA8: D1FF0070 0206E776
	v_cndmask_b32_e64 v100, v112, v114, s[84:85]               // 000000002FB0: D1000064 0152E570
	v_cmp_u_f32_e64 s[84:85], v119, v119                       // 000000002FB8: D0480054 0002EF77
	v_add3_u32 v112, v119, v115, 1                             // 000000002FC0: D1FF0070 0206E777
	v_cndmask_b32_e64 v101, v112, v114, s[84:85]               // 000000002FC8: D1000065 0152E570
	v_perm_b32 v85, v101, v100, s71                            // 000000002FD0: D1ED0055 011EC965
	ds_write_b32 v15, v84                                      // 000000002FD8: D81A0000 0000540F
	ds_write_b32 v15, v85 offset:260                           // 000000002FE0: D81A0104 0000550F
	v_add_u32_e64 v15, v15, s92                                // 000000002FE8: D134000F 0000B90F
	v_cvt_f32_i32_e32 v84, v196                                // 000000002FF0: 7EA80BC4
	v_mul_f32_e32 v100, v104, v84                              // 000000002FF4: 0AC8A968
	v_mul_f32_dpp v101, v108, v100 row_newbcast:4 row_mask:0xf bank_mask:0xf// 000000002FF8: 0ACAC8FA FF01546C
	v_add_f32_dpp v116, v109, v101 row_newbcast:4 row_mask:0xf bank_mask:0xf// 000000003000: 02E8CAFA FF01546D
	v_cvt_f32_i32_e32 v85, v197                                // 000000003008: 7EAA0BC5
	v_mul_f32_e32 v100, v104, v85                              // 00000000300C: 0AC8AB68
	v_mul_f32_dpp v101, v108, v100 row_newbcast:5 row_mask:0xf bank_mask:0xf// 000000003010: 0ACAC8FA FF01556C
	v_add_f32_dpp v117, v109, v101 row_newbcast:5 row_mask:0xf bank_mask:0xf// 000000003018: 02EACAFA FF01556D
	v_cvt_f32_i32_e32 v86, v198                                // 000000003020: 7EAC0BC6
	v_mul_f32_e32 v100, v104, v86                              // 000000003024: 0AC8AD68
	v_mul_f32_dpp v101, v108, v100 row_newbcast:6 row_mask:0xf bank_mask:0xf// 000000003028: 0ACAC8FA FF01566C
	v_add_f32_dpp v118, v109, v101 row_newbcast:6 row_mask:0xf bank_mask:0xf// 000000003030: 02ECCAFA FF01566D
	v_cvt_f32_i32_e32 v87, v199                                // 000000003038: 7EAE0BC7
	v_mul_f32_e32 v100, v104, v87                              // 00000000303C: 0AC8AF68
	v_mul_f32_dpp v101, v108, v100 row_newbcast:7 row_mask:0xf bank_mask:0xf// 000000003040: 0ACAC8FA FF01576C
	v_add_f32_dpp v119, v109, v101 row_newbcast:7 row_mask:0xf bank_mask:0xf// 000000003048: 02EECAFA FF01576D
	v_cmp_u_f32_e64 s[84:85], v116, v116                       // 000000003050: D0480054 0002E974
	v_add3_u32 v112, v116, v115, 1                             // 000000003058: D1FF0070 0206E774
	v_cndmask_b32_e64 v100, v112, v114, s[84:85]               // 000000003060: D1000064 0152E570
	v_cmp_u_f32_e64 s[84:85], v117, v117                       // 000000003068: D0480054 0002EB75
	v_add3_u32 v112, v117, v115, 1                             // 000000003070: D1FF0070 0206E775
	v_cndmask_b32_e64 v101, v112, v114, s[84:85]               // 000000003078: D1000065 0152E570
	v_perm_b32 v84, v101, v100, s71                            // 000000003080: D1ED0054 011EC965
	v_cmp_u_f32_e64 s[84:85], v118, v118                       // 000000003088: D0480054 0002ED76
	v_add3_u32 v112, v118, v115, 1                             // 000000003090: D1FF0070 0206E776
	v_cndmask_b32_e64 v100, v112, v114, s[84:85]               // 000000003098: D1000064 0152E570
	v_cmp_u_f32_e64 s[84:85], v119, v119                       // 0000000030A0: D0480054 0002EF77
	v_add3_u32 v112, v119, v115, 1                             // 0000000030A8: D1FF0070 0206E777
	v_cndmask_b32_e64 v101, v112, v114, s[84:85]               // 0000000030B0: D1000065 0152E570
	v_perm_b32 v85, v101, v100, s71                            // 0000000030B8: D1ED0055 011EC965
	ds_write_b32 v15, v84                                      // 0000000030C0: D81A0000 0000540F
	ds_write_b32 v15, v85 offset:260                           // 0000000030C8: D81A0104 0000550F
	v_add_u32_e64 v15, v15, s92                                // 0000000030D0: D134000F 0000B90F
	v_cvt_f32_i32_e32 v84, v200                                // 0000000030D8: 7EA80BC8
	v_mul_f32_e32 v100, v104, v84                              // 0000000030DC: 0AC8A968
	v_mul_f32_dpp v101, v108, v100 row_newbcast:8 row_mask:0xf bank_mask:0xf// 0000000030E0: 0ACAC8FA FF01586C
	v_add_f32_dpp v116, v109, v101 row_newbcast:8 row_mask:0xf bank_mask:0xf// 0000000030E8: 02E8CAFA FF01586D
	v_cvt_f32_i32_e32 v85, v201                                // 0000000030F0: 7EAA0BC9
	v_mul_f32_e32 v100, v104, v85                              // 0000000030F4: 0AC8AB68
	v_mul_f32_dpp v101, v108, v100 row_newbcast:9 row_mask:0xf bank_mask:0xf// 0000000030F8: 0ACAC8FA FF01596C
	v_add_f32_dpp v117, v109, v101 row_newbcast:9 row_mask:0xf bank_mask:0xf// 000000003100: 02EACAFA FF01596D
	v_cvt_f32_i32_e32 v86, v202                                // 000000003108: 7EAC0BCA
	v_mul_f32_e32 v100, v104, v86                              // 00000000310C: 0AC8AD68
	v_mul_f32_dpp v101, v108, v100 row_newbcast:10 row_mask:0xf bank_mask:0xf// 000000003110: 0ACAC8FA FF015A6C
	v_add_f32_dpp v118, v109, v101 row_newbcast:10 row_mask:0xf bank_mask:0xf// 000000003118: 02ECCAFA FF015A6D
	v_cvt_f32_i32_e32 v87, v203                                // 000000003120: 7EAE0BCB
	v_mul_f32_e32 v100, v104, v87                              // 000000003124: 0AC8AF68
	v_mul_f32_dpp v101, v108, v100 row_newbcast:11 row_mask:0xf bank_mask:0xf// 000000003128: 0ACAC8FA FF015B6C
	v_add_f32_dpp v119, v109, v101 row_newbcast:11 row_mask:0xf bank_mask:0xf// 000000003130: 02EECAFA FF015B6D
	v_cmp_u_f32_e64 s[84:85], v116, v116                       // 000000003138: D0480054 0002E974
	v_add3_u32 v112, v116, v115, 1                             // 000000003140: D1FF0070 0206E774
	v_cndmask_b32_e64 v100, v112, v114, s[84:85]               // 000000003148: D1000064 0152E570
	v_cmp_u_f32_e64 s[84:85], v117, v117                       // 000000003150: D0480054 0002EB75
	v_add3_u32 v112, v117, v115, 1                             // 000000003158: D1FF0070 0206E775
	v_cndmask_b32_e64 v101, v112, v114, s[84:85]               // 000000003160: D1000065 0152E570
	v_perm_b32 v84, v101, v100, s71                            // 000000003168: D1ED0054 011EC965
	v_cmp_u_f32_e64 s[84:85], v118, v118                       // 000000003170: D0480054 0002ED76
	v_add3_u32 v112, v118, v115, 1                             // 000000003178: D1FF0070 0206E776
	v_cndmask_b32_e64 v100, v112, v114, s[84:85]               // 000000003180: D1000064 0152E570
	v_cmp_u_f32_e64 s[84:85], v119, v119                       // 000000003188: D0480054 0002EF77
	v_add3_u32 v112, v119, v115, 1                             // 000000003190: D1FF0070 0206E777
	v_cndmask_b32_e64 v101, v112, v114, s[84:85]               // 000000003198: D1000065 0152E570
	v_perm_b32 v85, v101, v100, s71                            // 0000000031A0: D1ED0055 011EC965
	ds_write_b32 v15, v84                                      // 0000000031A8: D81A0000 0000540F
	ds_write_b32 v15, v85 offset:260                           // 0000000031B0: D81A0104 0000550F
	v_add_u32_e64 v15, v15, s92                                // 0000000031B8: D134000F 0000B90F
	v_cvt_f32_i32_e32 v84, v204                                // 0000000031C0: 7EA80BCC
	v_mul_f32_e32 v100, v104, v84                              // 0000000031C4: 0AC8A968
	v_mul_f32_dpp v101, v108, v100 row_newbcast:12 row_mask:0xf bank_mask:0xf// 0000000031C8: 0ACAC8FA FF015C6C
	v_add_f32_dpp v116, v109, v101 row_newbcast:12 row_mask:0xf bank_mask:0xf// 0000000031D0: 02E8CAFA FF015C6D
	v_cvt_f32_i32_e32 v85, v205                                // 0000000031D8: 7EAA0BCD
	v_mul_f32_e32 v100, v104, v85                              // 0000000031DC: 0AC8AB68
	v_mul_f32_dpp v101, v108, v100 row_newbcast:13 row_mask:0xf bank_mask:0xf// 0000000031E0: 0ACAC8FA FF015D6C
	v_add_f32_dpp v117, v109, v101 row_newbcast:13 row_mask:0xf bank_mask:0xf// 0000000031E8: 02EACAFA FF015D6D
	v_cvt_f32_i32_e32 v86, v206                                // 0000000031F0: 7EAC0BCE
	v_mul_f32_e32 v100, v104, v86                              // 0000000031F4: 0AC8AD68
	v_mul_f32_dpp v101, v108, v100 row_newbcast:14 row_mask:0xf bank_mask:0xf// 0000000031F8: 0ACAC8FA FF015E6C
	v_add_f32_dpp v118, v109, v101 row_newbcast:14 row_mask:0xf bank_mask:0xf// 000000003200: 02ECCAFA FF015E6D
	v_cvt_f32_i32_e32 v87, v207                                // 000000003208: 7EAE0BCF
	v_mul_f32_e32 v100, v104, v87                              // 00000000320C: 0AC8AF68
	v_mul_f32_dpp v101, v108, v100 row_newbcast:15 row_mask:0xf bank_mask:0xf// 000000003210: 0ACAC8FA FF015F6C
	v_add_f32_dpp v119, v109, v101 row_newbcast:15 row_mask:0xf bank_mask:0xf// 000000003218: 02EECAFA FF015F6D
	v_cmp_u_f32_e64 s[84:85], v116, v116                       // 000000003220: D0480054 0002E974
	v_add3_u32 v112, v116, v115, 1                             // 000000003228: D1FF0070 0206E774
	v_cndmask_b32_e64 v100, v112, v114, s[84:85]               // 000000003230: D1000064 0152E570
	v_cmp_u_f32_e64 s[84:85], v117, v117                       // 000000003238: D0480054 0002EB75
	v_add3_u32 v112, v117, v115, 1                             // 000000003240: D1FF0070 0206E775
	v_cndmask_b32_e64 v101, v112, v114, s[84:85]               // 000000003248: D1000065 0152E570
	v_perm_b32 v84, v101, v100, s71                            // 000000003250: D1ED0054 011EC965
	v_cmp_u_f32_e64 s[84:85], v118, v118                       // 000000003258: D0480054 0002ED76
	v_add3_u32 v112, v118, v115, 1                             // 000000003260: D1FF0070 0206E776
	v_cndmask_b32_e64 v100, v112, v114, s[84:85]               // 000000003268: D1000064 0152E570
	v_cmp_u_f32_e64 s[84:85], v119, v119                       // 000000003270: D0480054 0002EF77
	v_add3_u32 v112, v119, v115, 1                             // 000000003278: D1FF0070 0206E777
	v_cndmask_b32_e64 v101, v112, v114, s[84:85]               // 000000003280: D1000065 0152E570
	v_perm_b32 v85, v101, v100, s71                            // 000000003288: D1ED0055 011EC965
	ds_write_b32 v15, v84                                      // 000000003290: D81A0000 0000540F
	ds_write_b32 v15, v85 offset:260                           // 000000003298: D81A0104 0000550F
	v_add_u32_e64 v15, v15, s92                                // 0000000032A0: D134000F 0000B90F
	s_waitcnt lgkmcnt(0)                                       // 0000000032A8: BF8CC07F
	s_barrier                                                  // 0000000032AC: BF8A0000
	v_mov_b32_e32 v100, v0                                     // 0000000032B0: 7EC80300
	ds_read_b32 v120, v16                                      // 0000000032B4: D86C0000 78000010
	ds_read_b32 v121, v16 offset:4                             // 0000000032BC: D86C0004 79000010
	ds_read_b32 v122, v16 offset:8                             // 0000000032C4: D86C0008 7A000010
	ds_read_b32 v123, v16 offset:12                            // 0000000032CC: D86C000C 7B000010
	ds_read_b32 v124, v16 offset:16                            // 0000000032D4: D86C0010 7C000010
	ds_read_b32 v125, v16 offset:20                            // 0000000032DC: D86C0014 7D000010
	ds_read_b32 v126, v16 offset:24                            // 0000000032E4: D86C0018 7E000010
	ds_read_b32 v127, v16 offset:28                            // 0000000032EC: D86C001C 7F000010
	v_add_u32_e64 v15, v15, s91                                // 0000000032F4: D134000F 0000B70F
	v_add_u32_e64 v16, v16, s93                                // 0000000032FC: D1340010 0000BB10
	s_add_i32 s54, s54, 1                                      // 000000003304: 81368136
	s_cmp_gt_i32 s54, s40                                      // 000000003308: BF022836
	s_cbranch_scc1 label_08CA                                  // 00000000330C: BF850406
	s_waitcnt lgkmcnt(7)                                       // 000000003310: BF8CC77F
	buffer_store_dword v120, v10, s[16:19], 0 offen            // 000000003314: E0701000 8004780A
	v_add_u32_e64 v10, v10, s33                                // 00000000331C: D134000A 0000430A
	s_add_i32 s54, s54, 1                                      // 000000003324: 81368136
	s_cmp_gt_i32 s54, s40                                      // 000000003328: BF022836
	s_cbranch_scc1 label_08CA                                  // 00000000332C: BF8503FE
	s_waitcnt lgkmcnt(6)                                       // 000000003330: BF8CC67F
	buffer_store_dword v121, v10, s[16:19], 0 offen            // 000000003334: E0701000 8004790A
	v_add_u32_e64 v10, v10, s33                                // 00000000333C: D134000A 0000430A
	s_add_i32 s54, s54, 1                                      // 000000003344: 81368136
	s_cmp_gt_i32 s54, s40                                      // 000000003348: BF022836
	s_cbranch_scc1 label_08CA                                  // 00000000334C: BF8503F6
	s_waitcnt lgkmcnt(5)                                       // 000000003350: BF8CC57F
	buffer_store_dword v122, v10, s[16:19], 0 offen            // 000000003354: E0701000 80047A0A
	v_add_u32_e64 v10, v10, s33                                // 00000000335C: D134000A 0000430A
	s_add_i32 s54, s54, 1                                      // 000000003364: 81368136
	s_cmp_gt_i32 s54, s40                                      // 000000003368: BF022836
	s_cbranch_scc1 label_08CA                                  // 00000000336C: BF8503EE
	s_waitcnt lgkmcnt(4)                                       // 000000003370: BF8CC47F
	buffer_store_dword v123, v10, s[16:19], 0 offen            // 000000003374: E0701000 80047B0A
	v_add_u32_e64 v10, v10, s33                                // 00000000337C: D134000A 0000430A
	s_add_i32 s54, s54, 1                                      // 000000003384: 81368136
	s_cmp_gt_i32 s54, s40                                      // 000000003388: BF022836
	s_cbranch_scc1 label_08CA                                  // 00000000338C: BF8503E6
	s_waitcnt lgkmcnt(3)                                       // 000000003390: BF8CC37F
	buffer_store_dword v124, v10, s[16:19], 0 offen            // 000000003394: E0701000 80047C0A
	v_add_u32_e64 v10, v10, s33                                // 00000000339C: D134000A 0000430A
	s_add_i32 s54, s54, 1                                      // 0000000033A4: 81368136
	s_cmp_gt_i32 s54, s40                                      // 0000000033A8: BF022836
	s_cbranch_scc1 label_08CA                                  // 0000000033AC: BF8503DE
	s_waitcnt lgkmcnt(2)                                       // 0000000033B0: BF8CC27F
	buffer_store_dword v125, v10, s[16:19], 0 offen            // 0000000033B4: E0701000 80047D0A
	v_add_u32_e64 v10, v10, s33                                // 0000000033BC: D134000A 0000430A
	s_add_i32 s54, s54, 1                                      // 0000000033C4: 81368136
	s_cmp_gt_i32 s54, s40                                      // 0000000033C8: BF022836
	s_cbranch_scc1 label_08CA                                  // 0000000033CC: BF8503D6
	s_waitcnt lgkmcnt(1)                                       // 0000000033D0: BF8CC17F
	buffer_store_dword v126, v10, s[16:19], 0 offen            // 0000000033D4: E0701000 80047E0A
	v_add_u32_e64 v10, v10, s33                                // 0000000033DC: D134000A 0000430A
	s_add_i32 s54, s54, 1                                      // 0000000033E4: 81368136
	s_cmp_gt_i32 s54, s40                                      // 0000000033E8: BF022836
	s_cbranch_scc1 label_08CA                                  // 0000000033EC: BF8503CE
	s_waitcnt lgkmcnt(0)                                       // 0000000033F0: BF8CC07F
	buffer_store_dword v127, v10, s[16:19], 0 offen            // 0000000033F4: E0701000 80047F0A
	v_add_u32_e64 v10, v10, s33                                // 0000000033FC: D134000A 0000430A
	v_add_u32_e64 v10, v10, s32                                // 000000003404: D134000A 0000410A
	s_add_i32 s54, s54, 24                                     // 00000000340C: 81369836
	v_cvt_f32_i32_e32 v84, v208                                // 000000003410: 7EA80BD0
	v_mul_f32_e32 v100, v105, v84                              // 000000003414: 0AC8A969
	v_mul_f32_dpp v101, v108, v100 row_newbcast:0 row_mask:0xf bank_mask:0xf// 000000003418: 0ACAC8FA FF01506C
	v_add_f32_dpp v116, v109, v101 row_newbcast:0 row_mask:0xf bank_mask:0xf// 000000003420: 02E8CAFA FF01506D
	v_cvt_f32_i32_e32 v85, v209                                // 000000003428: 7EAA0BD1
	v_mul_f32_e32 v100, v105, v85                              // 00000000342C: 0AC8AB69
	v_mul_f32_dpp v101, v108, v100 row_newbcast:1 row_mask:0xf bank_mask:0xf// 000000003430: 0ACAC8FA FF01516C
	v_add_f32_dpp v117, v109, v101 row_newbcast:1 row_mask:0xf bank_mask:0xf// 000000003438: 02EACAFA FF01516D
	v_cvt_f32_i32_e32 v86, v210                                // 000000003440: 7EAC0BD2
	v_mul_f32_e32 v100, v105, v86                              // 000000003444: 0AC8AD69
	v_mul_f32_dpp v101, v108, v100 row_newbcast:2 row_mask:0xf bank_mask:0xf// 000000003448: 0ACAC8FA FF01526C
	v_add_f32_dpp v118, v109, v101 row_newbcast:2 row_mask:0xf bank_mask:0xf// 000000003450: 02ECCAFA FF01526D
	v_cvt_f32_i32_e32 v87, v211                                // 000000003458: 7EAE0BD3
	v_mul_f32_e32 v100, v105, v87                              // 00000000345C: 0AC8AF69
	v_mul_f32_dpp v101, v108, v100 row_newbcast:3 row_mask:0xf bank_mask:0xf// 000000003460: 0ACAC8FA FF01536C
	v_add_f32_dpp v119, v109, v101 row_newbcast:3 row_mask:0xf bank_mask:0xf// 000000003468: 02EECAFA FF01536D
	v_cmp_u_f32_e64 s[84:85], v116, v116                       // 000000003470: D0480054 0002E974
	v_add3_u32 v112, v116, v115, 1                             // 000000003478: D1FF0070 0206E774
	v_cndmask_b32_e64 v100, v112, v114, s[84:85]               // 000000003480: D1000064 0152E570
	v_cmp_u_f32_e64 s[84:85], v117, v117                       // 000000003488: D0480054 0002EB75
	v_add3_u32 v112, v117, v115, 1                             // 000000003490: D1FF0070 0206E775
	v_cndmask_b32_e64 v101, v112, v114, s[84:85]               // 000000003498: D1000065 0152E570
	v_perm_b32 v84, v101, v100, s71                            // 0000000034A0: D1ED0054 011EC965
	v_cmp_u_f32_e64 s[84:85], v118, v118                       // 0000000034A8: D0480054 0002ED76
	v_add3_u32 v112, v118, v115, 1                             // 0000000034B0: D1FF0070 0206E776
	v_cndmask_b32_e64 v100, v112, v114, s[84:85]               // 0000000034B8: D1000064 0152E570
	v_cmp_u_f32_e64 s[84:85], v119, v119                       // 0000000034C0: D0480054 0002EF77
	v_add3_u32 v112, v119, v115, 1                             // 0000000034C8: D1FF0070 0206E777
	v_cndmask_b32_e64 v101, v112, v114, s[84:85]               // 0000000034D0: D1000065 0152E570
	v_perm_b32 v85, v101, v100, s71                            // 0000000034D8: D1ED0055 011EC965
	ds_write_b32 v15, v84                                      // 0000000034E0: D81A0000 0000540F
	ds_write_b32 v15, v85 offset:260                           // 0000000034E8: D81A0104 0000550F
	v_add_u32_e64 v15, v15, s92                                // 0000000034F0: D134000F 0000B90F
	v_cvt_f32_i32_e32 v84, v212                                // 0000000034F8: 7EA80BD4
	v_mul_f32_e32 v100, v105, v84                              // 0000000034FC: 0AC8A969
	v_mul_f32_dpp v101, v108, v100 row_newbcast:4 row_mask:0xf bank_mask:0xf// 000000003500: 0ACAC8FA FF01546C
	v_add_f32_dpp v116, v109, v101 row_newbcast:4 row_mask:0xf bank_mask:0xf// 000000003508: 02E8CAFA FF01546D
	v_cvt_f32_i32_e32 v85, v213                                // 000000003510: 7EAA0BD5
	v_mul_f32_e32 v100, v105, v85                              // 000000003514: 0AC8AB69
	v_mul_f32_dpp v101, v108, v100 row_newbcast:5 row_mask:0xf bank_mask:0xf// 000000003518: 0ACAC8FA FF01556C
	v_add_f32_dpp v117, v109, v101 row_newbcast:5 row_mask:0xf bank_mask:0xf// 000000003520: 02EACAFA FF01556D
	v_cvt_f32_i32_e32 v86, v214                                // 000000003528: 7EAC0BD6
	v_mul_f32_e32 v100, v105, v86                              // 00000000352C: 0AC8AD69
	v_mul_f32_dpp v101, v108, v100 row_newbcast:6 row_mask:0xf bank_mask:0xf// 000000003530: 0ACAC8FA FF01566C
	v_add_f32_dpp v118, v109, v101 row_newbcast:6 row_mask:0xf bank_mask:0xf// 000000003538: 02ECCAFA FF01566D
	v_cvt_f32_i32_e32 v87, v215                                // 000000003540: 7EAE0BD7
	v_mul_f32_e32 v100, v105, v87                              // 000000003544: 0AC8AF69
	v_mul_f32_dpp v101, v108, v100 row_newbcast:7 row_mask:0xf bank_mask:0xf// 000000003548: 0ACAC8FA FF01576C
	v_add_f32_dpp v119, v109, v101 row_newbcast:7 row_mask:0xf bank_mask:0xf// 000000003550: 02EECAFA FF01576D
	v_cmp_u_f32_e64 s[84:85], v116, v116                       // 000000003558: D0480054 0002E974
	v_add3_u32 v112, v116, v115, 1                             // 000000003560: D1FF0070 0206E774
	v_cndmask_b32_e64 v100, v112, v114, s[84:85]               // 000000003568: D1000064 0152E570
	v_cmp_u_f32_e64 s[84:85], v117, v117                       // 000000003570: D0480054 0002EB75
	v_add3_u32 v112, v117, v115, 1                             // 000000003578: D1FF0070 0206E775
	v_cndmask_b32_e64 v101, v112, v114, s[84:85]               // 000000003580: D1000065 0152E570
	v_perm_b32 v84, v101, v100, s71                            // 000000003588: D1ED0054 011EC965
	v_cmp_u_f32_e64 s[84:85], v118, v118                       // 000000003590: D0480054 0002ED76
	v_add3_u32 v112, v118, v115, 1                             // 000000003598: D1FF0070 0206E776
	v_cndmask_b32_e64 v100, v112, v114, s[84:85]               // 0000000035A0: D1000064 0152E570
	v_cmp_u_f32_e64 s[84:85], v119, v119                       // 0000000035A8: D0480054 0002EF77
	v_add3_u32 v112, v119, v115, 1                             // 0000000035B0: D1FF0070 0206E777
	v_cndmask_b32_e64 v101, v112, v114, s[84:85]               // 0000000035B8: D1000065 0152E570
	v_perm_b32 v85, v101, v100, s71                            // 0000000035C0: D1ED0055 011EC965
	ds_write_b32 v15, v84                                      // 0000000035C8: D81A0000 0000540F
	ds_write_b32 v15, v85 offset:260                           // 0000000035D0: D81A0104 0000550F
	v_add_u32_e64 v15, v15, s92                                // 0000000035D8: D134000F 0000B90F
	v_cvt_f32_i32_e32 v84, v216                                // 0000000035E0: 7EA80BD8
	v_mul_f32_e32 v100, v105, v84                              // 0000000035E4: 0AC8A969
	v_mul_f32_dpp v101, v108, v100 row_newbcast:8 row_mask:0xf bank_mask:0xf// 0000000035E8: 0ACAC8FA FF01586C
	v_add_f32_dpp v116, v109, v101 row_newbcast:8 row_mask:0xf bank_mask:0xf// 0000000035F0: 02E8CAFA FF01586D
	v_cvt_f32_i32_e32 v85, v217                                // 0000000035F8: 7EAA0BD9
	v_mul_f32_e32 v100, v105, v85                              // 0000000035FC: 0AC8AB69
	v_mul_f32_dpp v101, v108, v100 row_newbcast:9 row_mask:0xf bank_mask:0xf// 000000003600: 0ACAC8FA FF01596C
	v_add_f32_dpp v117, v109, v101 row_newbcast:9 row_mask:0xf bank_mask:0xf// 000000003608: 02EACAFA FF01596D
	v_cvt_f32_i32_e32 v86, v218                                // 000000003610: 7EAC0BDA
	v_mul_f32_e32 v100, v105, v86                              // 000000003614: 0AC8AD69
	v_mul_f32_dpp v101, v108, v100 row_newbcast:10 row_mask:0xf bank_mask:0xf// 000000003618: 0ACAC8FA FF015A6C
	v_add_f32_dpp v118, v109, v101 row_newbcast:10 row_mask:0xf bank_mask:0xf// 000000003620: 02ECCAFA FF015A6D
	v_cvt_f32_i32_e32 v87, v219                                // 000000003628: 7EAE0BDB
	v_mul_f32_e32 v100, v105, v87                              // 00000000362C: 0AC8AF69
	v_mul_f32_dpp v101, v108, v100 row_newbcast:11 row_mask:0xf bank_mask:0xf// 000000003630: 0ACAC8FA FF015B6C
	v_add_f32_dpp v119, v109, v101 row_newbcast:11 row_mask:0xf bank_mask:0xf// 000000003638: 02EECAFA FF015B6D
	v_cmp_u_f32_e64 s[84:85], v116, v116                       // 000000003640: D0480054 0002E974
	v_add3_u32 v112, v116, v115, 1                             // 000000003648: D1FF0070 0206E774
	v_cndmask_b32_e64 v100, v112, v114, s[84:85]               // 000000003650: D1000064 0152E570
	v_cmp_u_f32_e64 s[84:85], v117, v117                       // 000000003658: D0480054 0002EB75
	v_add3_u32 v112, v117, v115, 1                             // 000000003660: D1FF0070 0206E775
	v_cndmask_b32_e64 v101, v112, v114, s[84:85]               // 000000003668: D1000065 0152E570
	v_perm_b32 v84, v101, v100, s71                            // 000000003670: D1ED0054 011EC965
	v_cmp_u_f32_e64 s[84:85], v118, v118                       // 000000003678: D0480054 0002ED76
	v_add3_u32 v112, v118, v115, 1                             // 000000003680: D1FF0070 0206E776
	v_cndmask_b32_e64 v100, v112, v114, s[84:85]               // 000000003688: D1000064 0152E570
	v_cmp_u_f32_e64 s[84:85], v119, v119                       // 000000003690: D0480054 0002EF77
	v_add3_u32 v112, v119, v115, 1                             // 000000003698: D1FF0070 0206E777
	v_cndmask_b32_e64 v101, v112, v114, s[84:85]               // 0000000036A0: D1000065 0152E570
	v_perm_b32 v85, v101, v100, s71                            // 0000000036A8: D1ED0055 011EC965
	ds_write_b32 v15, v84                                      // 0000000036B0: D81A0000 0000540F
	ds_write_b32 v15, v85 offset:260                           // 0000000036B8: D81A0104 0000550F
	v_add_u32_e64 v15, v15, s92                                // 0000000036C0: D134000F 0000B90F
	v_cvt_f32_i32_e32 v84, v220                                // 0000000036C8: 7EA80BDC
	v_mul_f32_e32 v100, v105, v84                              // 0000000036CC: 0AC8A969
	v_mul_f32_dpp v101, v108, v100 row_newbcast:12 row_mask:0xf bank_mask:0xf// 0000000036D0: 0ACAC8FA FF015C6C
	v_add_f32_dpp v116, v109, v101 row_newbcast:12 row_mask:0xf bank_mask:0xf// 0000000036D8: 02E8CAFA FF015C6D
	v_cvt_f32_i32_e32 v85, v221                                // 0000000036E0: 7EAA0BDD
	v_mul_f32_e32 v100, v105, v85                              // 0000000036E4: 0AC8AB69
	v_mul_f32_dpp v101, v108, v100 row_newbcast:13 row_mask:0xf bank_mask:0xf// 0000000036E8: 0ACAC8FA FF015D6C
	v_add_f32_dpp v117, v109, v101 row_newbcast:13 row_mask:0xf bank_mask:0xf// 0000000036F0: 02EACAFA FF015D6D
	v_cvt_f32_i32_e32 v86, v222                                // 0000000036F8: 7EAC0BDE
	v_mul_f32_e32 v100, v105, v86                              // 0000000036FC: 0AC8AD69
	v_mul_f32_dpp v101, v108, v100 row_newbcast:14 row_mask:0xf bank_mask:0xf// 000000003700: 0ACAC8FA FF015E6C
	v_add_f32_dpp v118, v109, v101 row_newbcast:14 row_mask:0xf bank_mask:0xf// 000000003708: 02ECCAFA FF015E6D
	v_cvt_f32_i32_e32 v87, v223                                // 000000003710: 7EAE0BDF
	v_mul_f32_e32 v100, v105, v87                              // 000000003714: 0AC8AF69
	v_mul_f32_dpp v101, v108, v100 row_newbcast:15 row_mask:0xf bank_mask:0xf// 000000003718: 0ACAC8FA FF015F6C
	v_add_f32_dpp v119, v109, v101 row_newbcast:15 row_mask:0xf bank_mask:0xf// 000000003720: 02EECAFA FF015F6D
	v_cmp_u_f32_e64 s[84:85], v116, v116                       // 000000003728: D0480054 0002E974
	v_add3_u32 v112, v116, v115, 1                             // 000000003730: D1FF0070 0206E774
	v_cndmask_b32_e64 v100, v112, v114, s[84:85]               // 000000003738: D1000064 0152E570
	v_cmp_u_f32_e64 s[84:85], v117, v117                       // 000000003740: D0480054 0002EB75
	v_add3_u32 v112, v117, v115, 1                             // 000000003748: D1FF0070 0206E775
	v_cndmask_b32_e64 v101, v112, v114, s[84:85]               // 000000003750: D1000065 0152E570
	v_perm_b32 v84, v101, v100, s71                            // 000000003758: D1ED0054 011EC965
	v_cmp_u_f32_e64 s[84:85], v118, v118                       // 000000003760: D0480054 0002ED76
	v_add3_u32 v112, v118, v115, 1                             // 000000003768: D1FF0070 0206E776
	v_cndmask_b32_e64 v100, v112, v114, s[84:85]               // 000000003770: D1000064 0152E570
	v_cmp_u_f32_e64 s[84:85], v119, v119                       // 000000003778: D0480054 0002EF77
	v_add3_u32 v112, v119, v115, 1                             // 000000003780: D1FF0070 0206E777
	v_cndmask_b32_e64 v101, v112, v114, s[84:85]               // 000000003788: D1000065 0152E570
	v_perm_b32 v85, v101, v100, s71                            // 000000003790: D1ED0055 011EC965
	ds_write_b32 v15, v84                                      // 000000003798: D81A0000 0000540F
	ds_write_b32 v15, v85 offset:260                           // 0000000037A0: D81A0104 0000550F
	v_add_u32_e64 v15, v15, s92                                // 0000000037A8: D134000F 0000B90F
	s_waitcnt lgkmcnt(0)                                       // 0000000037B0: BF8CC07F
	s_barrier                                                  // 0000000037B4: BF8A0000
	v_mov_b32_e32 v100, v0                                     // 0000000037B8: 7EC80300
	ds_read_b32 v120, v16                                      // 0000000037BC: D86C0000 78000010
	ds_read_b32 v121, v16 offset:4                             // 0000000037C4: D86C0004 79000010
	ds_read_b32 v122, v16 offset:8                             // 0000000037CC: D86C0008 7A000010
	ds_read_b32 v123, v16 offset:12                            // 0000000037D4: D86C000C 7B000010
	ds_read_b32 v124, v16 offset:16                            // 0000000037DC: D86C0010 7C000010
	ds_read_b32 v125, v16 offset:20                            // 0000000037E4: D86C0014 7D000010
	ds_read_b32 v126, v16 offset:24                            // 0000000037EC: D86C0018 7E000010
	ds_read_b32 v127, v16 offset:28                            // 0000000037F4: D86C001C 7F000010
	v_add_u32_e64 v15, v15, s91                                // 0000000037FC: D134000F 0000B70F
	v_add_u32_e64 v16, v16, s93                                // 000000003804: D1340010 0000BB10
	s_add_i32 s54, s54, 1                                      // 00000000380C: 81368136
	s_cmp_gt_i32 s54, s40                                      // 000000003810: BF022836
	s_cbranch_scc1 label_08CA                                  // 000000003814: BF8502C4
	s_waitcnt lgkmcnt(7)                                       // 000000003818: BF8CC77F
	buffer_store_dword v120, v10, s[16:19], 0 offen            // 00000000381C: E0701000 8004780A
	v_add_u32_e64 v10, v10, s33                                // 000000003824: D134000A 0000430A
	s_add_i32 s54, s54, 1                                      // 00000000382C: 81368136
	s_cmp_gt_i32 s54, s40                                      // 000000003830: BF022836
	s_cbranch_scc1 label_08CA                                  // 000000003834: BF8502BC
	s_waitcnt lgkmcnt(6)                                       // 000000003838: BF8CC67F
	buffer_store_dword v121, v10, s[16:19], 0 offen            // 00000000383C: E0701000 8004790A
	v_add_u32_e64 v10, v10, s33                                // 000000003844: D134000A 0000430A
	s_add_i32 s54, s54, 1                                      // 00000000384C: 81368136
	s_cmp_gt_i32 s54, s40                                      // 000000003850: BF022836
	s_cbranch_scc1 label_08CA                                  // 000000003854: BF8502B4
	s_waitcnt lgkmcnt(5)                                       // 000000003858: BF8CC57F
	buffer_store_dword v122, v10, s[16:19], 0 offen            // 00000000385C: E0701000 80047A0A
	v_add_u32_e64 v10, v10, s33                                // 000000003864: D134000A 0000430A
	s_add_i32 s54, s54, 1                                      // 00000000386C: 81368136
	s_cmp_gt_i32 s54, s40                                      // 000000003870: BF022836
	s_cbranch_scc1 label_08CA                                  // 000000003874: BF8502AC
	s_waitcnt lgkmcnt(4)                                       // 000000003878: BF8CC47F
	buffer_store_dword v123, v10, s[16:19], 0 offen            // 00000000387C: E0701000 80047B0A
	v_add_u32_e64 v10, v10, s33                                // 000000003884: D134000A 0000430A
	s_add_i32 s54, s54, 1                                      // 00000000388C: 81368136
	s_cmp_gt_i32 s54, s40                                      // 000000003890: BF022836
	s_cbranch_scc1 label_08CA                                  // 000000003894: BF8502A4
	s_waitcnt lgkmcnt(3)                                       // 000000003898: BF8CC37F
	buffer_store_dword v124, v10, s[16:19], 0 offen            // 00000000389C: E0701000 80047C0A
	v_add_u32_e64 v10, v10, s33                                // 0000000038A4: D134000A 0000430A
	s_add_i32 s54, s54, 1                                      // 0000000038AC: 81368136
	s_cmp_gt_i32 s54, s40                                      // 0000000038B0: BF022836
	s_cbranch_scc1 label_08CA                                  // 0000000038B4: BF85029C
	s_waitcnt lgkmcnt(2)                                       // 0000000038B8: BF8CC27F
	buffer_store_dword v125, v10, s[16:19], 0 offen            // 0000000038BC: E0701000 80047D0A
	v_add_u32_e64 v10, v10, s33                                // 0000000038C4: D134000A 0000430A
	s_add_i32 s54, s54, 1                                      // 0000000038CC: 81368136
	s_cmp_gt_i32 s54, s40                                      // 0000000038D0: BF022836
	s_cbranch_scc1 label_08CA                                  // 0000000038D4: BF850294
	s_waitcnt lgkmcnt(1)                                       // 0000000038D8: BF8CC17F
	buffer_store_dword v126, v10, s[16:19], 0 offen            // 0000000038DC: E0701000 80047E0A
	v_add_u32_e64 v10, v10, s33                                // 0000000038E4: D134000A 0000430A
	s_add_i32 s54, s54, 1                                      // 0000000038EC: 81368136
	s_cmp_gt_i32 s54, s40                                      // 0000000038F0: BF022836
	s_cbranch_scc1 label_08CA                                  // 0000000038F4: BF85028C
	s_waitcnt lgkmcnt(0)                                       // 0000000038F8: BF8CC07F
	buffer_store_dword v127, v10, s[16:19], 0 offen            // 0000000038FC: E0701000 80047F0A
	v_add_u32_e64 v10, v10, s33                                // 000000003904: D134000A 0000430A
	v_add_u32_e64 v10, v10, s32                                // 00000000390C: D134000A 0000410A
	s_add_i32 s54, s54, 24                                     // 000000003914: 81369836
	v_cvt_f32_i32_e32 v84, v224                                // 000000003918: 7EA80BE0
	v_mul_f32_e32 v100, v106, v84                              // 00000000391C: 0AC8A96A
	v_mul_f32_dpp v101, v108, v100 row_newbcast:0 row_mask:0xf bank_mask:0xf// 000000003920: 0ACAC8FA FF01506C
	v_add_f32_dpp v116, v109, v101 row_newbcast:0 row_mask:0xf bank_mask:0xf// 000000003928: 02E8CAFA FF01506D
	v_cvt_f32_i32_e32 v85, v225                                // 000000003930: 7EAA0BE1
	v_mul_f32_e32 v100, v106, v85                              // 000000003934: 0AC8AB6A
	v_mul_f32_dpp v101, v108, v100 row_newbcast:1 row_mask:0xf bank_mask:0xf// 000000003938: 0ACAC8FA FF01516C
	v_add_f32_dpp v117, v109, v101 row_newbcast:1 row_mask:0xf bank_mask:0xf// 000000003940: 02EACAFA FF01516D
	v_cvt_f32_i32_e32 v86, v226                                // 000000003948: 7EAC0BE2
	v_mul_f32_e32 v100, v106, v86                              // 00000000394C: 0AC8AD6A
	v_mul_f32_dpp v101, v108, v100 row_newbcast:2 row_mask:0xf bank_mask:0xf// 000000003950: 0ACAC8FA FF01526C
	v_add_f32_dpp v118, v109, v101 row_newbcast:2 row_mask:0xf bank_mask:0xf// 000000003958: 02ECCAFA FF01526D
	v_cvt_f32_i32_e32 v87, v227                                // 000000003960: 7EAE0BE3
	v_mul_f32_e32 v100, v106, v87                              // 000000003964: 0AC8AF6A
	v_mul_f32_dpp v101, v108, v100 row_newbcast:3 row_mask:0xf bank_mask:0xf// 000000003968: 0ACAC8FA FF01536C
	v_add_f32_dpp v119, v109, v101 row_newbcast:3 row_mask:0xf bank_mask:0xf// 000000003970: 02EECAFA FF01536D
	v_cmp_u_f32_e64 s[84:85], v116, v116                       // 000000003978: D0480054 0002E974
	v_add3_u32 v112, v116, v115, 1                             // 000000003980: D1FF0070 0206E774
	v_cndmask_b32_e64 v100, v112, v114, s[84:85]               // 000000003988: D1000064 0152E570
	v_cmp_u_f32_e64 s[84:85], v117, v117                       // 000000003990: D0480054 0002EB75
	v_add3_u32 v112, v117, v115, 1                             // 000000003998: D1FF0070 0206E775
	v_cndmask_b32_e64 v101, v112, v114, s[84:85]               // 0000000039A0: D1000065 0152E570
	v_perm_b32 v84, v101, v100, s71                            // 0000000039A8: D1ED0054 011EC965
	v_cmp_u_f32_e64 s[84:85], v118, v118                       // 0000000039B0: D0480054 0002ED76
	v_add3_u32 v112, v118, v115, 1                             // 0000000039B8: D1FF0070 0206E776
	v_cndmask_b32_e64 v100, v112, v114, s[84:85]               // 0000000039C0: D1000064 0152E570
	v_cmp_u_f32_e64 s[84:85], v119, v119                       // 0000000039C8: D0480054 0002EF77
	v_add3_u32 v112, v119, v115, 1                             // 0000000039D0: D1FF0070 0206E777
	v_cndmask_b32_e64 v101, v112, v114, s[84:85]               // 0000000039D8: D1000065 0152E570
	v_perm_b32 v85, v101, v100, s71                            // 0000000039E0: D1ED0055 011EC965
	ds_write_b32 v15, v84                                      // 0000000039E8: D81A0000 0000540F
	ds_write_b32 v15, v85 offset:260                           // 0000000039F0: D81A0104 0000550F
	v_add_u32_e64 v15, v15, s92                                // 0000000039F8: D134000F 0000B90F
	v_cvt_f32_i32_e32 v84, v228                                // 000000003A00: 7EA80BE4
	v_mul_f32_e32 v100, v106, v84                              // 000000003A04: 0AC8A96A
	v_mul_f32_dpp v101, v108, v100 row_newbcast:4 row_mask:0xf bank_mask:0xf// 000000003A08: 0ACAC8FA FF01546C
	v_add_f32_dpp v116, v109, v101 row_newbcast:4 row_mask:0xf bank_mask:0xf// 000000003A10: 02E8CAFA FF01546D
	v_cvt_f32_i32_e32 v85, v229                                // 000000003A18: 7EAA0BE5
	v_mul_f32_e32 v100, v106, v85                              // 000000003A1C: 0AC8AB6A
	v_mul_f32_dpp v101, v108, v100 row_newbcast:5 row_mask:0xf bank_mask:0xf// 000000003A20: 0ACAC8FA FF01556C
	v_add_f32_dpp v117, v109, v101 row_newbcast:5 row_mask:0xf bank_mask:0xf// 000000003A28: 02EACAFA FF01556D
	v_cvt_f32_i32_e32 v86, v230                                // 000000003A30: 7EAC0BE6
	v_mul_f32_e32 v100, v106, v86                              // 000000003A34: 0AC8AD6A
	v_mul_f32_dpp v101, v108, v100 row_newbcast:6 row_mask:0xf bank_mask:0xf// 000000003A38: 0ACAC8FA FF01566C
	v_add_f32_dpp v118, v109, v101 row_newbcast:6 row_mask:0xf bank_mask:0xf// 000000003A40: 02ECCAFA FF01566D
	v_cvt_f32_i32_e32 v87, v231                                // 000000003A48: 7EAE0BE7
	v_mul_f32_e32 v100, v106, v87                              // 000000003A4C: 0AC8AF6A
	v_mul_f32_dpp v101, v108, v100 row_newbcast:7 row_mask:0xf bank_mask:0xf// 000000003A50: 0ACAC8FA FF01576C
	v_add_f32_dpp v119, v109, v101 row_newbcast:7 row_mask:0xf bank_mask:0xf// 000000003A58: 02EECAFA FF01576D
	v_cmp_u_f32_e64 s[84:85], v116, v116                       // 000000003A60: D0480054 0002E974
	v_add3_u32 v112, v116, v115, 1                             // 000000003A68: D1FF0070 0206E774
	v_cndmask_b32_e64 v100, v112, v114, s[84:85]               // 000000003A70: D1000064 0152E570
	v_cmp_u_f32_e64 s[84:85], v117, v117                       // 000000003A78: D0480054 0002EB75
	v_add3_u32 v112, v117, v115, 1                             // 000000003A80: D1FF0070 0206E775
	v_cndmask_b32_e64 v101, v112, v114, s[84:85]               // 000000003A88: D1000065 0152E570
	v_perm_b32 v84, v101, v100, s71                            // 000000003A90: D1ED0054 011EC965
	v_cmp_u_f32_e64 s[84:85], v118, v118                       // 000000003A98: D0480054 0002ED76
	v_add3_u32 v112, v118, v115, 1                             // 000000003AA0: D1FF0070 0206E776
	v_cndmask_b32_e64 v100, v112, v114, s[84:85]               // 000000003AA8: D1000064 0152E570
	v_cmp_u_f32_e64 s[84:85], v119, v119                       // 000000003AB0: D0480054 0002EF77
	v_add3_u32 v112, v119, v115, 1                             // 000000003AB8: D1FF0070 0206E777
	v_cndmask_b32_e64 v101, v112, v114, s[84:85]               // 000000003AC0: D1000065 0152E570
	v_perm_b32 v85, v101, v100, s71                            // 000000003AC8: D1ED0055 011EC965
	ds_write_b32 v15, v84                                      // 000000003AD0: D81A0000 0000540F
	ds_write_b32 v15, v85 offset:260                           // 000000003AD8: D81A0104 0000550F
	v_add_u32_e64 v15, v15, s92                                // 000000003AE0: D134000F 0000B90F
	v_cvt_f32_i32_e32 v84, v232                                // 000000003AE8: 7EA80BE8
	v_mul_f32_e32 v100, v106, v84                              // 000000003AEC: 0AC8A96A
	v_mul_f32_dpp v101, v108, v100 row_newbcast:8 row_mask:0xf bank_mask:0xf// 000000003AF0: 0ACAC8FA FF01586C
	v_add_f32_dpp v116, v109, v101 row_newbcast:8 row_mask:0xf bank_mask:0xf// 000000003AF8: 02E8CAFA FF01586D
	v_cvt_f32_i32_e32 v85, v233                                // 000000003B00: 7EAA0BE9
	v_mul_f32_e32 v100, v106, v85                              // 000000003B04: 0AC8AB6A
	v_mul_f32_dpp v101, v108, v100 row_newbcast:9 row_mask:0xf bank_mask:0xf// 000000003B08: 0ACAC8FA FF01596C
	v_add_f32_dpp v117, v109, v101 row_newbcast:9 row_mask:0xf bank_mask:0xf// 000000003B10: 02EACAFA FF01596D
	v_cvt_f32_i32_e32 v86, v234                                // 000000003B18: 7EAC0BEA
	v_mul_f32_e32 v100, v106, v86                              // 000000003B1C: 0AC8AD6A
	v_mul_f32_dpp v101, v108, v100 row_newbcast:10 row_mask:0xf bank_mask:0xf// 000000003B20: 0ACAC8FA FF015A6C
	v_add_f32_dpp v118, v109, v101 row_newbcast:10 row_mask:0xf bank_mask:0xf// 000000003B28: 02ECCAFA FF015A6D
	v_cvt_f32_i32_e32 v87, v235                                // 000000003B30: 7EAE0BEB
	v_mul_f32_e32 v100, v106, v87                              // 000000003B34: 0AC8AF6A
	v_mul_f32_dpp v101, v108, v100 row_newbcast:11 row_mask:0xf bank_mask:0xf// 000000003B38: 0ACAC8FA FF015B6C
	v_add_f32_dpp v119, v109, v101 row_newbcast:11 row_mask:0xf bank_mask:0xf// 000000003B40: 02EECAFA FF015B6D
	v_cmp_u_f32_e64 s[84:85], v116, v116                       // 000000003B48: D0480054 0002E974
	v_add3_u32 v112, v116, v115, 1                             // 000000003B50: D1FF0070 0206E774
	v_cndmask_b32_e64 v100, v112, v114, s[84:85]               // 000000003B58: D1000064 0152E570
	v_cmp_u_f32_e64 s[84:85], v117, v117                       // 000000003B60: D0480054 0002EB75
	v_add3_u32 v112, v117, v115, 1                             // 000000003B68: D1FF0070 0206E775
	v_cndmask_b32_e64 v101, v112, v114, s[84:85]               // 000000003B70: D1000065 0152E570
	v_perm_b32 v84, v101, v100, s71                            // 000000003B78: D1ED0054 011EC965
	v_cmp_u_f32_e64 s[84:85], v118, v118                       // 000000003B80: D0480054 0002ED76
	v_add3_u32 v112, v118, v115, 1                             // 000000003B88: D1FF0070 0206E776
	v_cndmask_b32_e64 v100, v112, v114, s[84:85]               // 000000003B90: D1000064 0152E570
	v_cmp_u_f32_e64 s[84:85], v119, v119                       // 000000003B98: D0480054 0002EF77
	v_add3_u32 v112, v119, v115, 1                             // 000000003BA0: D1FF0070 0206E777
	v_cndmask_b32_e64 v101, v112, v114, s[84:85]               // 000000003BA8: D1000065 0152E570
	v_perm_b32 v85, v101, v100, s71                            // 000000003BB0: D1ED0055 011EC965
	ds_write_b32 v15, v84                                      // 000000003BB8: D81A0000 0000540F
	ds_write_b32 v15, v85 offset:260                           // 000000003BC0: D81A0104 0000550F
	v_add_u32_e64 v15, v15, s92                                // 000000003BC8: D134000F 0000B90F
	v_cvt_f32_i32_e32 v84, v236                                // 000000003BD0: 7EA80BEC
	v_mul_f32_e32 v100, v106, v84                              // 000000003BD4: 0AC8A96A
	v_mul_f32_dpp v101, v108, v100 row_newbcast:12 row_mask:0xf bank_mask:0xf// 000000003BD8: 0ACAC8FA FF015C6C
	v_add_f32_dpp v116, v109, v101 row_newbcast:12 row_mask:0xf bank_mask:0xf// 000000003BE0: 02E8CAFA FF015C6D
	v_cvt_f32_i32_e32 v85, v237                                // 000000003BE8: 7EAA0BED
	v_mul_f32_e32 v100, v106, v85                              // 000000003BEC: 0AC8AB6A
	v_mul_f32_dpp v101, v108, v100 row_newbcast:13 row_mask:0xf bank_mask:0xf// 000000003BF0: 0ACAC8FA FF015D6C
	v_add_f32_dpp v117, v109, v101 row_newbcast:13 row_mask:0xf bank_mask:0xf// 000000003BF8: 02EACAFA FF015D6D
	v_cvt_f32_i32_e32 v86, v238                                // 000000003C00: 7EAC0BEE
	v_mul_f32_e32 v100, v106, v86                              // 000000003C04: 0AC8AD6A
	v_mul_f32_dpp v101, v108, v100 row_newbcast:14 row_mask:0xf bank_mask:0xf// 000000003C08: 0ACAC8FA FF015E6C
	v_add_f32_dpp v118, v109, v101 row_newbcast:14 row_mask:0xf bank_mask:0xf// 000000003C10: 02ECCAFA FF015E6D
	v_cvt_f32_i32_e32 v87, v239                                // 000000003C18: 7EAE0BEF
	v_mul_f32_e32 v100, v106, v87                              // 000000003C1C: 0AC8AF6A
	v_mul_f32_dpp v101, v108, v100 row_newbcast:15 row_mask:0xf bank_mask:0xf// 000000003C20: 0ACAC8FA FF015F6C
	v_add_f32_dpp v119, v109, v101 row_newbcast:15 row_mask:0xf bank_mask:0xf// 000000003C28: 02EECAFA FF015F6D
	v_cmp_u_f32_e64 s[84:85], v116, v116                       // 000000003C30: D0480054 0002E974
	v_add3_u32 v112, v116, v115, 1                             // 000000003C38: D1FF0070 0206E774
	v_cndmask_b32_e64 v100, v112, v114, s[84:85]               // 000000003C40: D1000064 0152E570
	v_cmp_u_f32_e64 s[84:85], v117, v117                       // 000000003C48: D0480054 0002EB75
	v_add3_u32 v112, v117, v115, 1                             // 000000003C50: D1FF0070 0206E775
	v_cndmask_b32_e64 v101, v112, v114, s[84:85]               // 000000003C58: D1000065 0152E570
	v_perm_b32 v84, v101, v100, s71                            // 000000003C60: D1ED0054 011EC965
	v_cmp_u_f32_e64 s[84:85], v118, v118                       // 000000003C68: D0480054 0002ED76
	v_add3_u32 v112, v118, v115, 1                             // 000000003C70: D1FF0070 0206E776
	v_cndmask_b32_e64 v100, v112, v114, s[84:85]               // 000000003C78: D1000064 0152E570
	v_cmp_u_f32_e64 s[84:85], v119, v119                       // 000000003C80: D0480054 0002EF77
	v_add3_u32 v112, v119, v115, 1                             // 000000003C88: D1FF0070 0206E777
	v_cndmask_b32_e64 v101, v112, v114, s[84:85]               // 000000003C90: D1000065 0152E570
	v_perm_b32 v85, v101, v100, s71                            // 000000003C98: D1ED0055 011EC965
	ds_write_b32 v15, v84                                      // 000000003CA0: D81A0000 0000540F
	ds_write_b32 v15, v85 offset:260                           // 000000003CA8: D81A0104 0000550F
	v_add_u32_e64 v15, v15, s92                                // 000000003CB0: D134000F 0000B90F
	s_waitcnt lgkmcnt(0)                                       // 000000003CB8: BF8CC07F
	s_barrier                                                  // 000000003CBC: BF8A0000
	v_mov_b32_e32 v100, v0                                     // 000000003CC0: 7EC80300
	ds_read_b32 v120, v16                                      // 000000003CC4: D86C0000 78000010
	ds_read_b32 v121, v16 offset:4                             // 000000003CCC: D86C0004 79000010
	ds_read_b32 v122, v16 offset:8                             // 000000003CD4: D86C0008 7A000010
	ds_read_b32 v123, v16 offset:12                            // 000000003CDC: D86C000C 7B000010
	ds_read_b32 v124, v16 offset:16                            // 000000003CE4: D86C0010 7C000010
	ds_read_b32 v125, v16 offset:20                            // 000000003CEC: D86C0014 7D000010
	ds_read_b32 v126, v16 offset:24                            // 000000003CF4: D86C0018 7E000010
	ds_read_b32 v127, v16 offset:28                            // 000000003CFC: D86C001C 7F000010
	v_add_u32_e64 v15, v15, s91                                // 000000003D04: D134000F 0000B70F
	v_add_u32_e64 v16, v16, s93                                // 000000003D0C: D1340010 0000BB10
	s_add_i32 s54, s54, 1                                      // 000000003D14: 81368136
	s_cmp_gt_i32 s54, s40                                      // 000000003D18: BF022836
	s_cbranch_scc1 label_08CA                                  // 000000003D1C: BF850182
	s_waitcnt lgkmcnt(7)                                       // 000000003D20: BF8CC77F
	buffer_store_dword v120, v10, s[16:19], 0 offen            // 000000003D24: E0701000 8004780A
	v_add_u32_e64 v10, v10, s33                                // 000000003D2C: D134000A 0000430A
	s_add_i32 s54, s54, 1                                      // 000000003D34: 81368136
	s_cmp_gt_i32 s54, s40                                      // 000000003D38: BF022836
	s_cbranch_scc1 label_08CA                                  // 000000003D3C: BF85017A
	s_waitcnt lgkmcnt(6)                                       // 000000003D40: BF8CC67F
	buffer_store_dword v121, v10, s[16:19], 0 offen            // 000000003D44: E0701000 8004790A
	v_add_u32_e64 v10, v10, s33                                // 000000003D4C: D134000A 0000430A
	s_add_i32 s54, s54, 1                                      // 000000003D54: 81368136
	s_cmp_gt_i32 s54, s40                                      // 000000003D58: BF022836
	s_cbranch_scc1 label_08CA                                  // 000000003D5C: BF850172
	s_waitcnt lgkmcnt(5)                                       // 000000003D60: BF8CC57F
	buffer_store_dword v122, v10, s[16:19], 0 offen            // 000000003D64: E0701000 80047A0A
	v_add_u32_e64 v10, v10, s33                                // 000000003D6C: D134000A 0000430A
	s_add_i32 s54, s54, 1                                      // 000000003D74: 81368136
	s_cmp_gt_i32 s54, s40                                      // 000000003D78: BF022836
	s_cbranch_scc1 label_08CA                                  // 000000003D7C: BF85016A
	s_waitcnt lgkmcnt(4)                                       // 000000003D80: BF8CC47F
	buffer_store_dword v123, v10, s[16:19], 0 offen            // 000000003D84: E0701000 80047B0A
	v_add_u32_e64 v10, v10, s33                                // 000000003D8C: D134000A 0000430A
	s_add_i32 s54, s54, 1                                      // 000000003D94: 81368136
	s_cmp_gt_i32 s54, s40                                      // 000000003D98: BF022836
	s_cbranch_scc1 label_08CA                                  // 000000003D9C: BF850162
	s_waitcnt lgkmcnt(3)                                       // 000000003DA0: BF8CC37F
	buffer_store_dword v124, v10, s[16:19], 0 offen            // 000000003DA4: E0701000 80047C0A
	v_add_u32_e64 v10, v10, s33                                // 000000003DAC: D134000A 0000430A
	s_add_i32 s54, s54, 1                                      // 000000003DB4: 81368136
	s_cmp_gt_i32 s54, s40                                      // 000000003DB8: BF022836
	s_cbranch_scc1 label_08CA                                  // 000000003DBC: BF85015A
	s_waitcnt lgkmcnt(2)                                       // 000000003DC0: BF8CC27F
	buffer_store_dword v125, v10, s[16:19], 0 offen            // 000000003DC4: E0701000 80047D0A
	v_add_u32_e64 v10, v10, s33                                // 000000003DCC: D134000A 0000430A
	s_add_i32 s54, s54, 1                                      // 000000003DD4: 81368136
	s_cmp_gt_i32 s54, s40                                      // 000000003DD8: BF022836
	s_cbranch_scc1 label_08CA                                  // 000000003DDC: BF850152
	s_waitcnt lgkmcnt(1)                                       // 000000003DE0: BF8CC17F
	buffer_store_dword v126, v10, s[16:19], 0 offen            // 000000003DE4: E0701000 80047E0A
	v_add_u32_e64 v10, v10, s33                                // 000000003DEC: D134000A 0000430A
	s_add_i32 s54, s54, 1                                      // 000000003DF4: 81368136
	s_cmp_gt_i32 s54, s40                                      // 000000003DF8: BF022836
	s_cbranch_scc1 label_08CA                                  // 000000003DFC: BF85014A
	s_waitcnt lgkmcnt(0)                                       // 000000003E00: BF8CC07F
	buffer_store_dword v127, v10, s[16:19], 0 offen            // 000000003E04: E0701000 80047F0A
	v_add_u32_e64 v10, v10, s33                                // 000000003E0C: D134000A 0000430A
	v_add_u32_e64 v10, v10, s32                                // 000000003E14: D134000A 0000410A
	s_add_i32 s54, s54, 24                                     // 000000003E1C: 81369836
	v_cvt_f32_i32_e32 v84, v240                                // 000000003E20: 7EA80BF0
	v_mul_f32_e32 v100, v107, v84                              // 000000003E24: 0AC8A96B
	v_mul_f32_dpp v101, v108, v100 row_newbcast:0 row_mask:0xf bank_mask:0xf// 000000003E28: 0ACAC8FA FF01506C
	v_add_f32_dpp v116, v109, v101 row_newbcast:0 row_mask:0xf bank_mask:0xf// 000000003E30: 02E8CAFA FF01506D
	v_cvt_f32_i32_e32 v85, v241                                // 000000003E38: 7EAA0BF1
	v_mul_f32_e32 v100, v107, v85                              // 000000003E3C: 0AC8AB6B
	v_mul_f32_dpp v101, v108, v100 row_newbcast:1 row_mask:0xf bank_mask:0xf// 000000003E40: 0ACAC8FA FF01516C
	v_add_f32_dpp v117, v109, v101 row_newbcast:1 row_mask:0xf bank_mask:0xf// 000000003E48: 02EACAFA FF01516D
	v_cvt_f32_i32_e32 v86, v242                                // 000000003E50: 7EAC0BF2
	v_mul_f32_e32 v100, v107, v86                              // 000000003E54: 0AC8AD6B
	v_mul_f32_dpp v101, v108, v100 row_newbcast:2 row_mask:0xf bank_mask:0xf// 000000003E58: 0ACAC8FA FF01526C
	v_add_f32_dpp v118, v109, v101 row_newbcast:2 row_mask:0xf bank_mask:0xf// 000000003E60: 02ECCAFA FF01526D
	v_cvt_f32_i32_e32 v87, v243                                // 000000003E68: 7EAE0BF3
	v_mul_f32_e32 v100, v107, v87                              // 000000003E6C: 0AC8AF6B
	v_mul_f32_dpp v101, v108, v100 row_newbcast:3 row_mask:0xf bank_mask:0xf// 000000003E70: 0ACAC8FA FF01536C
	v_add_f32_dpp v119, v109, v101 row_newbcast:3 row_mask:0xf bank_mask:0xf// 000000003E78: 02EECAFA FF01536D
	v_cmp_u_f32_e64 s[84:85], v116, v116                       // 000000003E80: D0480054 0002E974
	v_add3_u32 v112, v116, v115, 1                             // 000000003E88: D1FF0070 0206E774
	v_cndmask_b32_e64 v100, v112, v114, s[84:85]               // 000000003E90: D1000064 0152E570
	v_cmp_u_f32_e64 s[84:85], v117, v117                       // 000000003E98: D0480054 0002EB75
	v_add3_u32 v112, v117, v115, 1                             // 000000003EA0: D1FF0070 0206E775
	v_cndmask_b32_e64 v101, v112, v114, s[84:85]               // 000000003EA8: D1000065 0152E570
	v_perm_b32 v84, v101, v100, s71                            // 000000003EB0: D1ED0054 011EC965
	v_cmp_u_f32_e64 s[84:85], v118, v118                       // 000000003EB8: D0480054 0002ED76
	v_add3_u32 v112, v118, v115, 1                             // 000000003EC0: D1FF0070 0206E776
	v_cndmask_b32_e64 v100, v112, v114, s[84:85]               // 000000003EC8: D1000064 0152E570
	v_cmp_u_f32_e64 s[84:85], v119, v119                       // 000000003ED0: D0480054 0002EF77
	v_add3_u32 v112, v119, v115, 1                             // 000000003ED8: D1FF0070 0206E777
	v_cndmask_b32_e64 v101, v112, v114, s[84:85]               // 000000003EE0: D1000065 0152E570
	v_perm_b32 v85, v101, v100, s71                            // 000000003EE8: D1ED0055 011EC965
	ds_write_b32 v15, v84                                      // 000000003EF0: D81A0000 0000540F
	ds_write_b32 v15, v85 offset:260                           // 000000003EF8: D81A0104 0000550F
	v_add_u32_e64 v15, v15, s92                                // 000000003F00: D134000F 0000B90F
	v_cvt_f32_i32_e32 v84, v244                                // 000000003F08: 7EA80BF4
	v_mul_f32_e32 v100, v107, v84                              // 000000003F0C: 0AC8A96B
	v_mul_f32_dpp v101, v108, v100 row_newbcast:4 row_mask:0xf bank_mask:0xf// 000000003F10: 0ACAC8FA FF01546C
	v_add_f32_dpp v116, v109, v101 row_newbcast:4 row_mask:0xf bank_mask:0xf// 000000003F18: 02E8CAFA FF01546D
	v_cvt_f32_i32_e32 v85, v245                                // 000000003F20: 7EAA0BF5
	v_mul_f32_e32 v100, v107, v85                              // 000000003F24: 0AC8AB6B
	v_mul_f32_dpp v101, v108, v100 row_newbcast:5 row_mask:0xf bank_mask:0xf// 000000003F28: 0ACAC8FA FF01556C
	v_add_f32_dpp v117, v109, v101 row_newbcast:5 row_mask:0xf bank_mask:0xf// 000000003F30: 02EACAFA FF01556D
	v_cvt_f32_i32_e32 v86, v246                                // 000000003F38: 7EAC0BF6
	v_mul_f32_e32 v100, v107, v86                              // 000000003F3C: 0AC8AD6B
	v_mul_f32_dpp v101, v108, v100 row_newbcast:6 row_mask:0xf bank_mask:0xf// 000000003F40: 0ACAC8FA FF01566C
	v_add_f32_dpp v118, v109, v101 row_newbcast:6 row_mask:0xf bank_mask:0xf// 000000003F48: 02ECCAFA FF01566D
	v_cvt_f32_i32_e32 v87, v247                                // 000000003F50: 7EAE0BF7
	v_mul_f32_e32 v100, v107, v87                              // 000000003F54: 0AC8AF6B
	v_mul_f32_dpp v101, v108, v100 row_newbcast:7 row_mask:0xf bank_mask:0xf// 000000003F58: 0ACAC8FA FF01576C
	v_add_f32_dpp v119, v109, v101 row_newbcast:7 row_mask:0xf bank_mask:0xf// 000000003F60: 02EECAFA FF01576D
	v_cmp_u_f32_e64 s[84:85], v116, v116                       // 000000003F68: D0480054 0002E974
	v_add3_u32 v112, v116, v115, 1                             // 000000003F70: D1FF0070 0206E774
	v_cndmask_b32_e64 v100, v112, v114, s[84:85]               // 000000003F78: D1000064 0152E570
	v_cmp_u_f32_e64 s[84:85], v117, v117                       // 000000003F80: D0480054 0002EB75
	v_add3_u32 v112, v117, v115, 1                             // 000000003F88: D1FF0070 0206E775
	v_cndmask_b32_e64 v101, v112, v114, s[84:85]               // 000000003F90: D1000065 0152E570
	v_perm_b32 v84, v101, v100, s71                            // 000000003F98: D1ED0054 011EC965
	v_cmp_u_f32_e64 s[84:85], v118, v118                       // 000000003FA0: D0480054 0002ED76
	v_add3_u32 v112, v118, v115, 1                             // 000000003FA8: D1FF0070 0206E776
	v_cndmask_b32_e64 v100, v112, v114, s[84:85]               // 000000003FB0: D1000064 0152E570
	v_cmp_u_f32_e64 s[84:85], v119, v119                       // 000000003FB8: D0480054 0002EF77
	v_add3_u32 v112, v119, v115, 1                             // 000000003FC0: D1FF0070 0206E777
	v_cndmask_b32_e64 v101, v112, v114, s[84:85]               // 000000003FC8: D1000065 0152E570
	v_perm_b32 v85, v101, v100, s71                            // 000000003FD0: D1ED0055 011EC965
	ds_write_b32 v15, v84                                      // 000000003FD8: D81A0000 0000540F
	ds_write_b32 v15, v85 offset:260                           // 000000003FE0: D81A0104 0000550F
	v_add_u32_e64 v15, v15, s92                                // 000000003FE8: D134000F 0000B90F
	v_cvt_f32_i32_e32 v84, v248                                // 000000003FF0: 7EA80BF8
	v_mul_f32_e32 v100, v107, v84                              // 000000003FF4: 0AC8A96B
	v_mul_f32_dpp v101, v108, v100 row_newbcast:8 row_mask:0xf bank_mask:0xf// 000000003FF8: 0ACAC8FA FF01586C
	v_add_f32_dpp v116, v109, v101 row_newbcast:8 row_mask:0xf bank_mask:0xf// 000000004000: 02E8CAFA FF01586D
	v_cvt_f32_i32_e32 v85, v249                                // 000000004008: 7EAA0BF9
	v_mul_f32_e32 v100, v107, v85                              // 00000000400C: 0AC8AB6B
	v_mul_f32_dpp v101, v108, v100 row_newbcast:9 row_mask:0xf bank_mask:0xf// 000000004010: 0ACAC8FA FF01596C
	v_add_f32_dpp v117, v109, v101 row_newbcast:9 row_mask:0xf bank_mask:0xf// 000000004018: 02EACAFA FF01596D
	v_cvt_f32_i32_e32 v86, v250                                // 000000004020: 7EAC0BFA
	v_mul_f32_e32 v100, v107, v86                              // 000000004024: 0AC8AD6B
	v_mul_f32_dpp v101, v108, v100 row_newbcast:10 row_mask:0xf bank_mask:0xf// 000000004028: 0ACAC8FA FF015A6C
	v_add_f32_dpp v118, v109, v101 row_newbcast:10 row_mask:0xf bank_mask:0xf// 000000004030: 02ECCAFA FF015A6D
	v_cvt_f32_i32_e32 v87, v251                                // 000000004038: 7EAE0BFB
	v_mul_f32_e32 v100, v107, v87                              // 00000000403C: 0AC8AF6B
	v_mul_f32_dpp v101, v108, v100 row_newbcast:11 row_mask:0xf bank_mask:0xf// 000000004040: 0ACAC8FA FF015B6C
	v_add_f32_dpp v119, v109, v101 row_newbcast:11 row_mask:0xf bank_mask:0xf// 000000004048: 02EECAFA FF015B6D
	v_cmp_u_f32_e64 s[84:85], v116, v116                       // 000000004050: D0480054 0002E974
	v_add3_u32 v112, v116, v115, 1                             // 000000004058: D1FF0070 0206E774
	v_cndmask_b32_e64 v100, v112, v114, s[84:85]               // 000000004060: D1000064 0152E570
	v_cmp_u_f32_e64 s[84:85], v117, v117                       // 000000004068: D0480054 0002EB75
	v_add3_u32 v112, v117, v115, 1                             // 000000004070: D1FF0070 0206E775
	v_cndmask_b32_e64 v101, v112, v114, s[84:85]               // 000000004078: D1000065 0152E570
	v_perm_b32 v84, v101, v100, s71                            // 000000004080: D1ED0054 011EC965
	v_cmp_u_f32_e64 s[84:85], v118, v118                       // 000000004088: D0480054 0002ED76
	v_add3_u32 v112, v118, v115, 1                             // 000000004090: D1FF0070 0206E776
	v_cndmask_b32_e64 v100, v112, v114, s[84:85]               // 000000004098: D1000064 0152E570
	v_cmp_u_f32_e64 s[84:85], v119, v119                       // 0000000040A0: D0480054 0002EF77
	v_add3_u32 v112, v119, v115, 1                             // 0000000040A8: D1FF0070 0206E777
	v_cndmask_b32_e64 v101, v112, v114, s[84:85]               // 0000000040B0: D1000065 0152E570
	v_perm_b32 v85, v101, v100, s71                            // 0000000040B8: D1ED0055 011EC965
	ds_write_b32 v15, v84                                      // 0000000040C0: D81A0000 0000540F
	ds_write_b32 v15, v85 offset:260                           // 0000000040C8: D81A0104 0000550F
	v_add_u32_e64 v15, v15, s92                                // 0000000040D0: D134000F 0000B90F
	v_cvt_f32_i32_e32 v84, v252                                // 0000000040D8: 7EA80BFC
	v_mul_f32_e32 v100, v107, v84                              // 0000000040DC: 0AC8A96B
	v_mul_f32_dpp v101, v108, v100 row_newbcast:12 row_mask:0xf bank_mask:0xf// 0000000040E0: 0ACAC8FA FF015C6C
	v_add_f32_dpp v116, v109, v101 row_newbcast:12 row_mask:0xf bank_mask:0xf// 0000000040E8: 02E8CAFA FF015C6D
	v_cvt_f32_i32_e32 v85, v253                                // 0000000040F0: 7EAA0BFD
	v_mul_f32_e32 v100, v107, v85                              // 0000000040F4: 0AC8AB6B
	v_mul_f32_dpp v101, v108, v100 row_newbcast:13 row_mask:0xf bank_mask:0xf// 0000000040F8: 0ACAC8FA FF015D6C
	v_add_f32_dpp v117, v109, v101 row_newbcast:13 row_mask:0xf bank_mask:0xf// 000000004100: 02EACAFA FF015D6D
	v_cvt_f32_i32_e32 v86, v254                                // 000000004108: 7EAC0BFE
	v_mul_f32_e32 v100, v107, v86                              // 00000000410C: 0AC8AD6B
	v_mul_f32_dpp v101, v108, v100 row_newbcast:14 row_mask:0xf bank_mask:0xf// 000000004110: 0ACAC8FA FF015E6C
	v_add_f32_dpp v118, v109, v101 row_newbcast:14 row_mask:0xf bank_mask:0xf// 000000004118: 02ECCAFA FF015E6D
	v_cvt_f32_i32_e32 v87, v255                                // 000000004120: 7EAE0BFF
	v_mul_f32_e32 v100, v107, v87                              // 000000004124: 0AC8AF6B
	v_mul_f32_dpp v101, v108, v100 row_newbcast:15 row_mask:0xf bank_mask:0xf// 000000004128: 0ACAC8FA FF015F6C
	v_add_f32_dpp v119, v109, v101 row_newbcast:15 row_mask:0xf bank_mask:0xf// 000000004130: 02EECAFA FF015F6D
	v_cmp_u_f32_e64 s[84:85], v116, v116                       // 000000004138: D0480054 0002E974
	v_add3_u32 v112, v116, v115, 1                             // 000000004140: D1FF0070 0206E774
	v_cndmask_b32_e64 v100, v112, v114, s[84:85]               // 000000004148: D1000064 0152E570
	v_cmp_u_f32_e64 s[84:85], v117, v117                       // 000000004150: D0480054 0002EB75
	v_add3_u32 v112, v117, v115, 1                             // 000000004158: D1FF0070 0206E775
	v_cndmask_b32_e64 v101, v112, v114, s[84:85]               // 000000004160: D1000065 0152E570
	v_perm_b32 v84, v101, v100, s71                            // 000000004168: D1ED0054 011EC965
	v_cmp_u_f32_e64 s[84:85], v118, v118                       // 000000004170: D0480054 0002ED76
	v_add3_u32 v112, v118, v115, 1                             // 000000004178: D1FF0070 0206E776
	v_cndmask_b32_e64 v100, v112, v114, s[84:85]               // 000000004180: D1000064 0152E570
	v_cmp_u_f32_e64 s[84:85], v119, v119                       // 000000004188: D0480054 0002EF77
	v_add3_u32 v112, v119, v115, 1                             // 000000004190: D1FF0070 0206E777
	v_cndmask_b32_e64 v101, v112, v114, s[84:85]               // 000000004198: D1000065 0152E570
	v_perm_b32 v85, v101, v100, s71                            // 0000000041A0: D1ED0055 011EC965
	ds_write_b32 v15, v84                                      // 0000000041A8: D81A0000 0000540F
	ds_write_b32 v15, v85 offset:260                           // 0000000041B0: D81A0104 0000550F
	v_add_u32_e64 v15, v15, s92                                // 0000000041B8: D134000F 0000B90F
	s_waitcnt lgkmcnt(0)                                       // 0000000041C0: BF8CC07F
	s_barrier                                                  // 0000000041C4: BF8A0000
	v_mov_b32_e32 v100, v0                                     // 0000000041C8: 7EC80300
	ds_read_b32 v120, v16                                      // 0000000041CC: D86C0000 78000010
	ds_read_b32 v121, v16 offset:4                             // 0000000041D4: D86C0004 79000010
	ds_read_b32 v122, v16 offset:8                             // 0000000041DC: D86C0008 7A000010
	ds_read_b32 v123, v16 offset:12                            // 0000000041E4: D86C000C 7B000010
	ds_read_b32 v124, v16 offset:16                            // 0000000041EC: D86C0010 7C000010
	ds_read_b32 v125, v16 offset:20                            // 0000000041F4: D86C0014 7D000010
	ds_read_b32 v126, v16 offset:24                            // 0000000041FC: D86C0018 7E000010
	ds_read_b32 v127, v16 offset:28                            // 000000004204: D86C001C 7F000010
	v_add_u32_e64 v15, v15, s91                                // 00000000420C: D134000F 0000B70F
	v_add_u32_e64 v16, v16, s93                                // 000000004214: D1340010 0000BB10
	s_add_i32 s54, s54, 1                                      // 00000000421C: 81368136
	s_cmp_gt_i32 s54, s40                                      // 000000004220: BF022836
	s_cbranch_scc1 label_08CA                                  // 000000004224: BF850040
	s_waitcnt lgkmcnt(7)                                       // 000000004228: BF8CC77F
	buffer_store_dword v120, v10, s[16:19], 0 offen            // 00000000422C: E0701000 8004780A
	v_add_u32_e64 v10, v10, s33                                // 000000004234: D134000A 0000430A
	s_add_i32 s54, s54, 1                                      // 00000000423C: 81368136
	s_cmp_gt_i32 s54, s40                                      // 000000004240: BF022836
	s_cbranch_scc1 label_08CA                                  // 000000004244: BF850038
	s_waitcnt lgkmcnt(6)                                       // 000000004248: BF8CC67F
	buffer_store_dword v121, v10, s[16:19], 0 offen            // 00000000424C: E0701000 8004790A
	v_add_u32_e64 v10, v10, s33                                // 000000004254: D134000A 0000430A
	s_add_i32 s54, s54, 1                                      // 00000000425C: 81368136
	s_cmp_gt_i32 s54, s40                                      // 000000004260: BF022836
	s_cbranch_scc1 label_08CA                                  // 000000004264: BF850030
	s_waitcnt lgkmcnt(5)                                       // 000000004268: BF8CC57F
	buffer_store_dword v122, v10, s[16:19], 0 offen            // 00000000426C: E0701000 80047A0A
	v_add_u32_e64 v10, v10, s33                                // 000000004274: D134000A 0000430A
	s_add_i32 s54, s54, 1                                      // 00000000427C: 81368136
	s_cmp_gt_i32 s54, s40                                      // 000000004280: BF022836
	s_cbranch_scc1 label_08CA                                  // 000000004284: BF850028
	s_waitcnt lgkmcnt(4)                                       // 000000004288: BF8CC47F
	buffer_store_dword v123, v10, s[16:19], 0 offen            // 00000000428C: E0701000 80047B0A
	v_add_u32_e64 v10, v10, s33                                // 000000004294: D134000A 0000430A
	s_add_i32 s54, s54, 1                                      // 00000000429C: 81368136
	s_cmp_gt_i32 s54, s40                                      // 0000000042A0: BF022836
	s_cbranch_scc1 label_08CA                                  // 0000000042A4: BF850020
	s_waitcnt lgkmcnt(3)                                       // 0000000042A8: BF8CC37F
	buffer_store_dword v124, v10, s[16:19], 0 offen            // 0000000042AC: E0701000 80047C0A
	v_add_u32_e64 v10, v10, s33                                // 0000000042B4: D134000A 0000430A
	s_add_i32 s54, s54, 1                                      // 0000000042BC: 81368136
	s_cmp_gt_i32 s54, s40                                      // 0000000042C0: BF022836
	s_cbranch_scc1 label_08CA                                  // 0000000042C4: BF850018
	s_waitcnt lgkmcnt(2)                                       // 0000000042C8: BF8CC27F
	buffer_store_dword v125, v10, s[16:19], 0 offen            // 0000000042CC: E0701000 80047D0A
	v_add_u32_e64 v10, v10, s33                                // 0000000042D4: D134000A 0000430A
	s_add_i32 s54, s54, 1                                      // 0000000042DC: 81368136
	s_cmp_gt_i32 s54, s40                                      // 0000000042E0: BF022836
	s_cbranch_scc1 label_08CA                                  // 0000000042E4: BF850010
	s_waitcnt lgkmcnt(1)                                       // 0000000042E8: BF8CC17F
	buffer_store_dword v126, v10, s[16:19], 0 offen            // 0000000042EC: E0701000 80047E0A
	v_add_u32_e64 v10, v10, s33                                // 0000000042F4: D134000A 0000430A
	s_add_i32 s54, s54, 1                                      // 0000000042FC: 81368136
	s_cmp_gt_i32 s54, s40                                      // 000000004300: BF022836
	s_cbranch_scc1 label_08CA                                  // 000000004304: BF850008
	s_waitcnt lgkmcnt(0)                                       // 000000004308: BF8CC07F
	buffer_store_dword v127, v10, s[16:19], 0 offen            // 00000000430C: E0701000 80047F0A
	v_add_u32_e64 v10, v10, s33                                // 000000004314: D134000A 0000430A
	v_add_u32_e64 v10, v10, s32                                // 00000000431C: D134000A 0000410A
	s_add_i32 s54, s54, 24                                     // 000000004324: 81369836

0000000000004328 <label_08CA>:
	s_waitcnt vmcnt(0) expcnt(0) lgkmcnt(0)                    // 000000004328: BF8C0000
	s_endpgm                                                   // 00000000432C: BF810000
